;; amdgpu-corpus repo=ROCm/rocFFT kind=compiled arch=gfx1030 opt=O3
	.text
	.amdgcn_target "amdgcn-amd-amdhsa--gfx1030"
	.amdhsa_code_object_version 6
	.protected	bluestein_single_fwd_len637_dim1_dp_op_CI_CI ; -- Begin function bluestein_single_fwd_len637_dim1_dp_op_CI_CI
	.globl	bluestein_single_fwd_len637_dim1_dp_op_CI_CI
	.p2align	8
	.type	bluestein_single_fwd_len637_dim1_dp_op_CI_CI,@function
bluestein_single_fwd_len637_dim1_dp_op_CI_CI: ; @bluestein_single_fwd_len637_dim1_dp_op_CI_CI
; %bb.0:
	s_load_dwordx4 s[0:3], s[4:5], 0x28
	v_mul_u32_u24_e32 v1, 0x2d1, v0
	v_mov_b32_e32 v101, 0
	v_lshrrev_b32_e32 v1, 16, v1
	v_add_nc_u32_e32 v100, s6, v1
	s_waitcnt lgkmcnt(0)
	v_cmp_gt_u64_e32 vcc_lo, s[0:1], v[100:101]
	s_and_saveexec_b32 s0, vcc_lo
	s_cbranch_execz .LBB0_15
; %bb.1:
	s_clause 0x1
	s_load_dwordx2 s[14:15], s[4:5], 0x0
	s_load_dwordx2 s[12:13], s[4:5], 0x38
	v_mul_lo_u16 v1, 0x5b, v1
	v_sub_nc_u16 v0, v0, v1
	v_and_b32_e32 v246, 0xffff, v0
	v_cmp_gt_u16_e32 vcc_lo, 49, v0
	v_lshlrev_b32_e32 v245, 4, v246
	s_and_saveexec_b32 s1, vcc_lo
	s_cbranch_execz .LBB0_3
; %bb.2:
	s_load_dwordx2 s[6:7], s[4:5], 0x18
	s_waitcnt lgkmcnt(0)
	v_add_co_u32 v14, s0, s14, v245
	v_add_co_ci_u32_e64 v15, null, s15, 0, s0
	v_add_co_u32 v22, s0, 0x800, v14
	v_add_co_ci_u32_e64 v23, s0, 0, v15, s0
	v_add_co_u32 v28, s0, 0x1000, v14
	v_add_co_ci_u32_e64 v29, s0, 0, v15, s0
	;; [unrolled: 2-line block ×3, first 2 shown]
	v_add_co_u32 v96, s0, 0x2000, v14
	s_load_dwordx4 s[8:11], s[6:7], 0x0
	v_add_co_ci_u32_e64 v97, s0, 0, v15, s0
	s_clause 0x2
	global_load_dwordx4 v[0:3], v245, s[14:15]
	global_load_dwordx4 v[4:7], v245, s[14:15] offset:784
	global_load_dwordx4 v[8:11], v245, s[14:15] offset:1568
	s_waitcnt lgkmcnt(0)
	v_mad_u64_u32 v[20:21], null, s10, v100, 0
	v_mad_u64_u32 v[24:25], null, s8, v246, 0
	s_mul_i32 s6, s9, 0x310
	s_mul_hi_u32 s7, s8, 0x310
	s_add_i32 s7, s7, s6
	v_mov_b32_e32 v12, v21
	v_mad_u64_u32 v[12:13], null, s11, v100, v[12:13]
	v_mov_b32_e32 v13, v25
	v_mad_u64_u32 v[25:26], null, s9, v246, v[13:14]
	v_mov_b32_e32 v21, v12
	s_clause 0x1
	global_load_dwordx4 v[12:15], v[22:23], off offset:304
	global_load_dwordx4 v[16:19], v[22:23], off offset:1088
	v_lshlrev_b64 v[26:27], 4, v[20:21]
	v_lshlrev_b64 v[24:25], 4, v[24:25]
	global_load_dwordx4 v[20:23], v[22:23], off offset:1872
	v_add_co_u32 v26, s0, s2, v26
	v_add_co_ci_u32_e64 v27, s0, s3, v27, s0
	s_mul_i32 s2, s8, 0x310
	v_add_co_u32 v44, s0, v26, v24
	v_add_co_ci_u32_e64 v45, s0, v27, v25, s0
	s_clause 0x1
	global_load_dwordx4 v[24:27], v[28:29], off offset:608
	global_load_dwordx4 v[28:31], v[28:29], off offset:1392
	v_add_co_u32 v48, s0, v44, s2
	v_add_co_ci_u32_e64 v49, s0, s7, v45, s0
	s_clause 0x1
	global_load_dwordx4 v[32:35], v[40:41], off offset:128
	global_load_dwordx4 v[36:39], v[40:41], off offset:912
	v_add_co_u32 v52, s0, v48, s2
	v_add_co_ci_u32_e64 v53, s0, s7, v49, s0
	global_load_dwordx4 v[40:43], v[40:41], off offset:1696
	v_add_co_u32 v56, s0, v52, s2
	v_add_co_ci_u32_e64 v57, s0, s7, v53, s0
	s_clause 0x1
	global_load_dwordx4 v[44:47], v[44:45], off
	global_load_dwordx4 v[48:51], v[48:49], off
	v_add_co_u32 v60, s0, v56, s2
	v_add_co_ci_u32_e64 v61, s0, s7, v57, s0
	s_clause 0x1
	global_load_dwordx4 v[52:55], v[52:53], off
	global_load_dwordx4 v[56:59], v[56:57], off
	v_add_co_u32 v64, s0, v60, s2
	v_add_co_ci_u32_e64 v65, s0, s7, v61, s0
	global_load_dwordx4 v[60:63], v[60:61], off
	v_add_co_u32 v68, s0, v64, s2
	v_add_co_ci_u32_e64 v69, s0, s7, v65, s0
	;; [unrolled: 3-line block ×7, first 2 shown]
	v_add_co_u32 v101, s0, v88, s2
	v_add_co_ci_u32_e64 v102, s0, s7, v89, s0
	global_load_dwordx4 v[84:87], v[84:85], off
	global_load_dwordx4 v[88:91], v[88:89], off
	s_clause 0x1
	global_load_dwordx4 v[92:95], v[96:97], off offset:432
	global_load_dwordx4 v[96:99], v[96:97], off offset:1216
	global_load_dwordx4 v[101:104], v[101:102], off
	s_waitcnt vmcnt(14)
	v_mul_f64 v[105:106], v[46:47], v[2:3]
	v_mul_f64 v[2:3], v[44:45], v[2:3]
	s_waitcnt vmcnt(13)
	v_mul_f64 v[107:108], v[50:51], v[6:7]
	v_mul_f64 v[6:7], v[48:49], v[6:7]
	;; [unrolled: 3-line block ×5, first 2 shown]
	v_fma_f64 v[44:45], v[44:45], v[0:1], v[105:106]
	s_waitcnt vmcnt(9)
	v_mul_f64 v[105:106], v[66:67], v[22:23]
	v_mul_f64 v[22:23], v[64:65], v[22:23]
	v_fma_f64 v[46:47], v[46:47], v[0:1], -v[2:3]
	v_fma_f64 v[0:1], v[48:49], v[4:5], v[107:108]
	s_waitcnt vmcnt(8)
	v_mul_f64 v[48:49], v[70:71], v[26:27]
	v_mul_f64 v[26:27], v[68:69], v[26:27]
	v_fma_f64 v[2:3], v[50:51], v[4:5], -v[6:7]
	s_waitcnt vmcnt(7)
	v_mul_f64 v[50:51], v[74:75], v[30:31]
	v_mul_f64 v[30:31], v[72:73], v[30:31]
	s_waitcnt vmcnt(6)
	v_mul_f64 v[107:108], v[78:79], v[34:35]
	v_mul_f64 v[34:35], v[76:77], v[34:35]
	v_fma_f64 v[4:5], v[52:53], v[8:9], v[109:110]
	v_fma_f64 v[6:7], v[54:55], v[8:9], -v[10:11]
	s_waitcnt vmcnt(5)
	v_mul_f64 v[115:116], v[82:83], v[38:39]
	v_mul_f64 v[38:39], v[80:81], v[38:39]
	v_fma_f64 v[8:9], v[56:57], v[12:13], v[111:112]
	v_fma_f64 v[10:11], v[58:59], v[12:13], -v[14:15]
	v_fma_f64 v[12:13], v[60:61], v[16:17], v[113:114]
	v_fma_f64 v[14:15], v[62:63], v[16:17], -v[18:19]
	s_waitcnt vmcnt(4)
	v_mul_f64 v[117:118], v[86:87], v[42:43]
	v_mul_f64 v[42:43], v[84:85], v[42:43]
	s_waitcnt vmcnt(2)
	v_mul_f64 v[119:120], v[90:91], v[94:95]
	v_mul_f64 v[94:95], v[88:89], v[94:95]
	;; [unrolled: 3-line block ×3, first 2 shown]
	v_fma_f64 v[16:17], v[64:65], v[20:21], v[105:106]
	v_fma_f64 v[18:19], v[66:67], v[20:21], -v[22:23]
	v_fma_f64 v[20:21], v[68:69], v[24:25], v[48:49]
	v_fma_f64 v[22:23], v[70:71], v[24:25], -v[26:27]
	;; [unrolled: 2-line block ×8, first 2 shown]
	ds_write_b128 v245, v[44:47]
	ds_write_b128 v245, v[0:3] offset:784
	ds_write_b128 v245, v[4:7] offset:1568
	;; [unrolled: 1-line block ×12, first 2 shown]
.LBB0_3:
	s_or_b32 exec_lo, exec_lo, s1
	s_clause 0x1
	s_load_dwordx2 s[2:3], s[4:5], 0x20
	s_load_dwordx2 s[0:1], s[4:5], 0x8
	s_waitcnt lgkmcnt(0)
	s_barrier
	buffer_gl0_inv
                                        ; implicit-def: $vgpr32_vgpr33
                                        ; implicit-def: $vgpr52_vgpr53
                                        ; implicit-def: $vgpr60_vgpr61
                                        ; implicit-def: $vgpr64_vgpr65
                                        ; implicit-def: $vgpr68_vgpr69
                                        ; implicit-def: $vgpr72_vgpr73
                                        ; implicit-def: $vgpr56_vgpr57
                                        ; implicit-def: $vgpr48_vgpr49
                                        ; implicit-def: $vgpr44_vgpr45
                                        ; implicit-def: $vgpr40_vgpr41
                                        ; implicit-def: $vgpr36_vgpr37
                                        ; implicit-def: $vgpr28_vgpr29
                                        ; implicit-def: $vgpr24_vgpr25
	s_and_saveexec_b32 s4, vcc_lo
	s_cbranch_execz .LBB0_5
; %bb.4:
	ds_read_b128 v[32:35], v245
	ds_read_b128 v[52:55], v245 offset:784
	ds_read_b128 v[60:63], v245 offset:1568
	;; [unrolled: 1-line block ×12, first 2 shown]
.LBB0_5:
	s_or_b32 exec_lo, exec_lo, s4
	s_waitcnt lgkmcnt(0)
	v_add_f64 v[14:15], v[54:55], -v[26:27]
	v_add_f64 v[12:13], v[52:53], -v[24:25]
	s_mov_b32 s22, 0x42a4c3d2
	s_mov_b32 s21, 0xbfddbe06
	;; [unrolled: 1-line block ×4, first 2 shown]
	v_add_f64 v[76:77], v[52:53], v[24:25]
	v_add_f64 v[78:79], v[54:55], v[26:27]
	v_add_f64 v[18:19], v[62:63], -v[30:31]
	v_add_f64 v[16:17], v[60:61], -v[28:29]
	s_mov_b32 s6, 0xe00740e9
	s_mov_b32 s4, 0x1ea71119
	;; [unrolled: 1-line block ×6, first 2 shown]
	v_add_f64 v[103:104], v[60:61], v[28:29]
	v_add_f64 v[105:106], v[62:63], v[30:31]
	v_add_f64 v[20:21], v[66:67], -v[38:39]
	v_add_f64 v[22:23], v[64:65], -v[36:37]
	s_mov_b32 s34, 0x66966769
	s_mov_b32 s8, 0xb2365da1
	v_mul_f64 v[101:102], v[14:15], s[20:21]
	v_mul_f64 v[107:108], v[12:13], s[20:21]
	;; [unrolled: 1-line block ×4, first 2 shown]
	s_mov_b32 s28, 0x4bc48dbf
	s_mov_b32 s35, 0xbfefc445
	;; [unrolled: 1-line block ×4, first 2 shown]
	v_mul_f64 v[80:81], v[18:19], s[22:23]
	v_mul_f64 v[82:83], v[16:17], s[22:23]
	;; [unrolled: 1-line block ×4, first 2 shown]
	v_add_f64 v[88:89], v[64:65], v[36:37]
	v_add_f64 v[90:91], v[66:67], v[38:39]
	v_add_f64 v[221:222], v[70:71], -v[42:43]
	v_add_f64 v[223:224], v[68:69], -v[40:41]
	v_mul_f64 v[149:150], v[14:15], s[34:35]
	v_mul_f64 v[151:152], v[12:13], s[34:35]
	;; [unrolled: 1-line block ×6, first 2 shown]
	v_fma_f64 v[0:1], v[76:77], s[6:7], v[101:102]
	v_fma_f64 v[2:3], v[78:79], s[6:7], -v[107:108]
	v_fma_f64 v[4:5], v[76:77], s[4:5], v[113:114]
	v_fma_f64 v[6:7], v[78:79], s[4:5], -v[117:118]
	s_mov_b32 s10, 0xebaa3ed8
	s_mov_b32 s26, 0x24c2f84
	;; [unrolled: 1-line block ×4, first 2 shown]
	v_fma_f64 v[8:9], v[103:104], s[4:5], v[80:81]
	v_fma_f64 v[10:11], v[105:106], s[4:5], -v[82:83]
	v_fma_f64 v[133:134], v[103:104], s[8:9], v[109:110]
	v_fma_f64 v[139:140], v[105:106], s[8:9], -v[111:112]
	s_mov_b32 s27, 0xbfe5384d
	s_mov_b32 s17, 0xbfef11f4
	;; [unrolled: 1-line block ×4, first 2 shown]
	v_add_f64 v[92:93], v[68:69], v[40:41]
	v_add_f64 v[94:95], v[70:71], v[42:43]
	v_add_f64 v[227:228], v[74:75], -v[46:47]
	v_add_f64 v[231:232], v[72:73], -v[44:45]
	v_mul_f64 v[115:116], v[221:222], s[24:25]
	v_mul_f64 v[119:120], v[223:224], s[24:25]
	v_add_f64 v[0:1], v[32:33], v[0:1]
	v_add_f64 v[2:3], v[34:35], v[2:3]
	;; [unrolled: 1-line block ×4, first 2 shown]
	v_mul_f64 v[131:132], v[18:19], s[28:29]
	v_mul_f64 v[145:146], v[16:17], s[28:29]
	v_fma_f64 v[155:156], v[88:89], s[10:11], v[84:85]
	v_fma_f64 v[157:158], v[90:91], s[10:11], -v[86:87]
	v_fma_f64 v[159:160], v[76:77], s[10:11], v[149:150]
	v_fma_f64 v[161:162], v[78:79], s[10:11], -v[151:152]
	v_mul_f64 v[127:128], v[221:222], s[36:37]
	v_mul_f64 v[191:192], v[14:15], s[24:25]
	;; [unrolled: 1-line block ×4, first 2 shown]
	s_mov_b32 s18, 0xd0032e0c
	s_mov_b32 s19, 0xbfe7f3cc
	;; [unrolled: 1-line block ×6, first 2 shown]
	v_add_f64 v[96:97], v[72:73], v[44:45]
	v_add_f64 v[98:99], v[74:75], v[46:47]
	;; [unrolled: 1-line block ×4, first 2 shown]
	v_fma_f64 v[8:9], v[88:89], s[16:17], v[125:126]
	v_add_f64 v[4:5], v[133:134], v[4:5]
	v_fma_f64 v[10:11], v[90:91], s[16:17], -v[129:130]
	v_add_f64 v[6:7], v[139:140], v[6:7]
	v_mul_f64 v[137:138], v[231:232], s[26:27]
	v_mul_f64 v[141:142], v[227:228], s[30:31]
	;; [unrolled: 1-line block ×3, first 2 shown]
	v_fma_f64 v[165:166], v[92:93], s[8:9], v[115:116]
	v_fma_f64 v[167:168], v[94:95], s[8:9], -v[119:120]
	v_fma_f64 v[171:172], v[103:104], s[16:17], v[131:132]
	v_fma_f64 v[173:174], v[105:106], s[16:17], -v[145:146]
	v_add_f64 v[159:160], v[32:33], v[159:160]
	v_add_f64 v[175:176], v[34:35], v[161:162]
	v_mul_f64 v[163:164], v[18:19], s[36:37]
	v_fma_f64 v[177:178], v[78:79], s[8:9], -v[197:198]
	v_mul_f64 v[169:170], v[16:17], s[36:37]
	v_mul_f64 v[217:218], v[14:15], s[26:27]
	v_fma_f64 v[181:182], v[92:93], s[18:19], v[127:128]
	v_mul_f64 v[219:220], v[12:13], s[26:27]
	s_mov_b32 s21, 0x3fddbe06
	v_add_f64 v[0:1], v[155:156], v[0:1]
	v_add_f64 v[2:3], v[157:158], v[2:3]
	v_mul_f64 v[157:158], v[22:23], s[38:39]
	v_fma_f64 v[155:156], v[76:77], s[8:9], v[191:192]
	v_add_f64 v[4:5], v[8:9], v[4:5]
	v_fma_f64 v[8:9], v[94:95], s[18:19], -v[147:148]
	v_add_f64 v[6:7], v[10:11], v[6:7]
	v_add_f64 v[247:248], v[58:59], -v[50:51]
	v_add_f64 v[249:250], v[56:57], -v[48:49]
	v_mul_f64 v[135:136], v[227:228], s[26:27]
	v_mul_f64 v[143:144], v[231:232], s[30:31]
	v_mul_f64 v[161:162], v[221:222], s[20:21]
	v_fma_f64 v[183:184], v[98:99], s[18:19], -v[137:138]
	v_fma_f64 v[185:186], v[88:89], s[8:9], v[153:154]
	v_add_f64 v[171:172], v[171:172], v[159:160]
	v_add_f64 v[173:174], v[173:174], v[175:176]
	v_fma_f64 v[187:188], v[103:104], s[18:19], v[163:164]
	v_add_f64 v[189:190], v[34:35], v[177:178]
	v_fma_f64 v[193:194], v[105:106], s[18:19], -v[169:170]
	v_mul_f64 v[177:178], v[20:21], s[20:21]
	v_mul_f64 v[179:180], v[22:23], s[20:21]
	v_fma_f64 v[199:200], v[96:97], s[10:11], v[141:142]
	v_add_f64 v[0:1], v[165:166], v[0:1]
	v_add_f64 v[2:3], v[167:168], v[2:3]
	v_fma_f64 v[167:168], v[90:91], s[8:9], -v[157:158]
	v_mul_f64 v[165:166], v[223:224], s[20:21]
	v_add_f64 v[175:176], v[32:33], v[155:156]
	v_add_f64 v[4:5], v[181:182], v[4:5]
	;; [unrolled: 1-line block ×3, first 2 shown]
	v_fma_f64 v[8:9], v[76:77], s[18:19], v[217:218]
	v_mul_f64 v[195:196], v[18:19], s[30:31]
	v_fma_f64 v[201:202], v[78:79], s[18:19], -v[219:220]
	v_mul_f64 v[211:212], v[16:17], s[30:31]
	v_add_f64 v[121:122], v[56:57], v[48:49]
	v_add_f64 v[123:124], v[58:59], v[50:51]
	v_mul_f64 v[133:134], v[247:248], s[28:29]
	v_mul_f64 v[139:140], v[249:250], s[28:29]
	v_fma_f64 v[10:11], v[96:97], s[18:19], v[135:136]
	v_mul_f64 v[155:156], v[247:248], s[20:21]
	v_fma_f64 v[203:204], v[98:99], s[10:11], -v[143:144]
	v_mul_f64 v[159:160], v[249:250], s[20:21]
	v_add_f64 v[185:186], v[185:186], v[171:172]
	v_fma_f64 v[209:210], v[92:93], s[6:7], v[161:162]
	v_mul_f64 v[171:172], v[231:232], s[22:23]
	v_add_f64 v[189:190], v[193:194], v[189:190]
	v_fma_f64 v[193:194], v[88:89], s[6:7], v[177:178]
	v_add_f64 v[173:174], v[167:168], v[173:174]
	v_fma_f64 v[213:214], v[94:95], s[6:7], -v[165:166]
	v_mul_f64 v[167:168], v[227:228], s[22:23]
	v_add_f64 v[187:188], v[187:188], v[175:176]
	v_fma_f64 v[225:226], v[90:91], s[6:7], -v[179:180]
	v_mul_f64 v[181:182], v[221:222], s[34:35]
	v_add_f64 v[2:3], v[183:184], v[2:3]
	v_mul_f64 v[183:184], v[223:224], s[34:35]
	v_add_f64 v[4:5], v[199:200], v[4:5]
	v_add_f64 v[8:9], v[32:33], v[8:9]
	v_fma_f64 v[199:200], v[103:104], s[10:11], v[195:196]
	v_add_f64 v[229:230], v[34:35], v[201:202]
	v_fma_f64 v[233:234], v[105:106], s[10:11], -v[211:212]
	v_mul_f64 v[201:202], v[20:21], s[22:23]
	v_mul_f64 v[215:216], v[22:23], s[22:23]
	s_mov_b32 s35, 0x3fcea1e5
	s_mov_b32 s34, s28
	v_fma_f64 v[205:206], v[121:122], s[16:17], v[133:134]
	v_fma_f64 v[207:208], v[123:124], s[16:17], -v[139:140]
	v_add_f64 v[0:1], v[10:11], v[0:1]
	v_fma_f64 v[10:11], v[121:122], s[6:7], v[155:156]
	v_add_f64 v[6:7], v[203:204], v[6:7]
	v_fma_f64 v[235:236], v[123:124], s[6:7], -v[159:160]
	v_add_f64 v[237:238], v[209:210], v[185:186]
	v_add_f64 v[213:214], v[213:214], v[173:174]
	v_fma_f64 v[239:240], v[96:97], s[4:5], v[167:168]
	v_fma_f64 v[241:242], v[98:99], s[4:5], -v[171:172]
	v_mul_f64 v[173:174], v[247:248], s[26:27]
	v_mul_f64 v[175:176], v[249:250], s[26:27]
	v_add_f64 v[193:194], v[193:194], v[187:188]
	v_add_f64 v[189:190], v[225:226], v[189:190]
	v_fma_f64 v[225:226], v[92:93], s[10:11], v[181:182]
	v_fma_f64 v[243:244], v[94:95], s[10:11], -v[183:184]
	v_mul_f64 v[185:186], v[227:228], s[34:35]
	v_mul_f64 v[187:188], v[231:232], s[34:35]
	;; [unrolled: 6-line block ×3, first 2 shown]
	s_mov_b32 s23, 0x3fea55e2
	v_add_f64 v[0:1], v[205:206], v[0:1]
	v_add_f64 v[2:3], v[207:208], v[2:3]
	v_add_f64 v[4:5], v[10:11], v[4:5]
	v_add_f64 v[6:7], v[235:236], v[6:7]
	v_mul_f64 v[207:208], v[227:228], s[20:21]
	v_add_f64 v[10:11], v[239:240], v[237:238]
	v_add_f64 v[205:206], v[241:242], v[213:214]
	v_fma_f64 v[235:236], v[121:122], s[18:19], v[173:174]
	v_fma_f64 v[237:238], v[123:124], s[18:19], -v[175:176]
	v_mul_f64 v[213:214], v[231:232], s[20:21]
	v_add_f64 v[225:226], v[225:226], v[193:194]
	v_add_f64 v[239:240], v[243:244], v[189:190]
	v_fma_f64 v[241:242], v[96:97], s[16:17], v[185:186]
	v_fma_f64 v[243:244], v[98:99], s[16:17], -v[187:188]
	v_mul_f64 v[189:190], v[247:248], s[22:23]
	v_mul_f64 v[193:194], v[249:250], s[22:23]
	v_add_f64 v[229:230], v[229:230], v[8:9]
	v_add_f64 v[199:200], v[233:234], v[199:200]
	v_fma_f64 v[233:234], v[92:93], s[16:17], v[203:204]
	v_fma_f64 v[251:252], v[94:95], s[16:17], -v[209:210]
	s_barrier
	buffer_gl0_inv
	v_add_f64 v[8:9], v[235:236], v[10:11]
	v_add_f64 v[10:11], v[237:238], v[205:206]
	v_fma_f64 v[253:254], v[98:99], s[6:7], -v[213:214]
	v_mul_f64 v[205:206], v[249:250], s[24:25]
	v_mul_f64 v[237:238], v[14:15], s[28:29]
	v_add_f64 v[225:226], v[241:242], v[225:226]
	v_add_f64 v[235:236], v[243:244], v[239:240]
	v_fma_f64 v[239:240], v[121:122], s[4:5], v[189:190]
	v_fma_f64 v[243:244], v[123:124], s[4:5], -v[193:194]
	v_mul_f64 v[241:242], v[12:13], s[28:29]
	v_add_f64 v[229:230], v[233:234], v[229:230]
	v_add_f64 v[233:234], v[251:252], v[199:200]
	v_fma_f64 v[251:252], v[96:97], s[6:7], v[207:208]
	v_mul_f64 v[199:200], v[247:248], s[24:25]
	v_add_f64 v[12:13], v[239:240], v[225:226]
	v_add_f64 v[14:15], v[243:244], v[235:236]
	v_fma_f64 v[235:236], v[123:124], s[8:9], -v[205:206]
	v_mul_f64 v[239:240], v[18:19], s[20:21]
	v_mul_f64 v[243:244], v[16:17], s[20:21]
	v_add_f64 v[225:226], v[251:252], v[229:230]
	v_add_f64 v[229:230], v[253:254], v[233:234]
	v_fma_f64 v[233:234], v[121:122], s[8:9], v[199:200]
	v_fma_f64 v[251:252], v[76:77], s[16:17], v[237:238]
	v_fma_f64 v[253:254], v[78:79], s[16:17], -v[241:242]
	v_add_f64 v[18:19], v[235:236], v[229:230]
	v_add_f64 v[16:17], v[233:234], v[225:226]
	;; [unrolled: 1-line block ×3, first 2 shown]
	v_fma_f64 v[229:230], v[103:104], s[6:7], v[239:240]
	v_add_f64 v[251:252], v[34:35], v[253:254]
	v_fma_f64 v[253:254], v[105:106], s[6:7], -v[243:244]
	v_mul_f64 v[233:234], v[20:21], s[26:27]
	v_mul_f64 v[235:236], v[22:23], s[26:27]
	v_add_f64 v[20:21], v[229:230], v[225:226]
	v_mul_f64 v[225:226], v[221:222], s[22:23]
	v_add_f64 v[22:23], v[253:254], v[251:252]
	v_fma_f64 v[251:252], v[88:89], s[18:19], v[233:234]
	v_fma_f64 v[253:254], v[90:91], s[18:19], -v[235:236]
	v_mul_f64 v[229:230], v[223:224], s[22:23]
	v_mul_f64 v[221:222], v[227:228], s[24:25]
	;; [unrolled: 1-line block ×5, first 2 shown]
	v_add_f64 v[20:21], v[251:252], v[20:21]
	v_add_f64 v[22:23], v[253:254], v[22:23]
	v_fma_f64 v[251:252], v[92:93], s[4:5], v[225:226]
	v_fma_f64 v[253:254], v[94:95], s[4:5], -v[229:230]
	v_fma_f64 v[247:248], v[121:122], s[10:11], v[227:228]
	v_fma_f64 v[249:250], v[123:124], s[10:11], -v[231:232]
	v_add_f64 v[20:21], v[251:252], v[20:21]
	v_add_f64 v[22:23], v[253:254], v[22:23]
	v_fma_f64 v[251:252], v[96:97], s[8:9], v[221:222]
	v_fma_f64 v[253:254], v[98:99], s[8:9], -v[223:224]
	v_add_f64 v[20:21], v[251:252], v[20:21]
	v_add_f64 v[22:23], v[253:254], v[22:23]
	;; [unrolled: 1-line block ×4, first 2 shown]
	v_mul_lo_u16 v247, v246, 13
	s_and_saveexec_b32 s20, vcc_lo
	s_cbranch_execz .LBB0_7
; %bb.6:
	v_add_f64 v[54:55], v[34:35], v[54:55]
	v_add_f64 v[52:53], v[32:33], v[52:53]
	v_mul_f64 v[248:249], v[78:79], s[8:9]
	v_mul_f64 v[250:251], v[76:77], s[8:9]
	;; [unrolled: 1-line block ×3, first 2 shown]
	v_add_f64 v[54:55], v[54:55], v[62:63]
	v_add_f64 v[52:53], v[52:53], v[60:61]
	v_mul_f64 v[60:61], v[78:79], s[16:17]
	v_mul_f64 v[62:63], v[76:77], s[16:17]
	v_add_f64 v[197:198], v[197:198], v[248:249]
	v_mul_f64 v[248:249], v[90:91], s[18:19]
	v_add_f64 v[191:192], v[250:251], -v[191:192]
	v_mul_f64 v[250:251], v[105:106], s[16:17]
	v_add_f64 v[101:102], v[252:253], -v[101:102]
	v_mul_f64 v[252:253], v[88:89], s[16:17]
	v_add_f64 v[54:55], v[54:55], v[66:67]
	v_add_f64 v[52:53], v[52:53], v[64:65]
	v_mul_f64 v[64:65], v[105:106], s[6:7]
	v_add_f64 v[60:61], v[241:242], v[60:61]
	v_mul_f64 v[66:67], v[103:104], s[6:7]
	v_mul_f64 v[241:242], v[78:79], s[10:11]
	v_add_f64 v[62:63], v[62:63], -v[237:238]
	v_mul_f64 v[237:238], v[76:77], s[10:11]
	v_add_f64 v[235:236], v[235:236], v[248:249]
	v_mul_f64 v[248:249], v[90:91], s[16:17]
	v_add_f64 v[197:198], v[34:35], v[197:198]
	v_add_f64 v[191:192], v[32:33], v[191:192]
	;; [unrolled: 1-line block ×3, first 2 shown]
	v_mul_f64 v[250:251], v[98:99], s[4:5]
	v_add_f64 v[54:55], v[54:55], v[70:71]
	v_add_f64 v[52:53], v[52:53], v[68:69]
	v_mul_f64 v[68:69], v[78:79], s[18:19]
	v_mul_f64 v[70:71], v[76:77], s[18:19]
	;; [unrolled: 1-line block ×3, first 2 shown]
	v_add_f64 v[64:65], v[243:244], v[64:65]
	v_add_f64 v[60:61], v[34:35], v[60:61]
	v_mul_f64 v[243:244], v[105:106], s[4:5]
	v_add_f64 v[66:67], v[66:67], -v[239:240]
	v_add_f64 v[151:152], v[151:152], v[241:242]
	v_mul_f64 v[241:242], v[88:89], s[18:19]
	v_add_f64 v[149:150], v[237:238], -v[149:150]
	v_add_f64 v[62:63], v[32:33], v[62:63]
	v_mul_f64 v[239:240], v[103:104], s[8:9]
	v_mul_f64 v[237:238], v[103:104], s[18:19]
	v_add_f64 v[129:130], v[129:130], v[248:249]
	v_add_f64 v[54:55], v[54:55], v[74:75]
	;; [unrolled: 1-line block ×3, first 2 shown]
	v_mul_f64 v[72:73], v[78:79], s[4:5]
	v_mul_f64 v[74:75], v[78:79], s[6:7]
	;; [unrolled: 1-line block ×3, first 2 shown]
	v_add_f64 v[68:69], v[219:220], v[68:69]
	v_mul_f64 v[219:220], v[105:106], s[8:9]
	v_add_f64 v[70:71], v[70:71], -v[217:218]
	v_add_f64 v[76:77], v[76:77], -v[113:114]
	v_mul_f64 v[217:218], v[103:104], s[16:17]
	v_add_f64 v[60:61], v[64:65], v[60:61]
	v_mul_f64 v[103:104], v[103:104], s[10:11]
	v_mul_f64 v[113:114], v[88:89], s[10:11]
	;; [unrolled: 1-line block ×3, first 2 shown]
	v_add_f64 v[233:234], v[241:242], -v[233:234]
	v_mul_f64 v[241:242], v[121:122], s[10:11]
	v_add_f64 v[62:63], v[66:67], v[62:63]
	v_mul_f64 v[66:67], v[123:124], s[10:11]
	v_add_f64 v[151:152], v[34:35], v[151:152]
	v_add_f64 v[149:150], v[32:33], v[149:150]
	;; [unrolled: 1-line block ×3, first 2 shown]
	v_add_f64 v[109:110], v[239:240], -v[109:110]
	v_add_f64 v[54:55], v[54:55], v[58:59]
	v_mul_f64 v[58:59], v[92:93], s[4:5]
	v_add_f64 v[72:73], v[117:118], v[72:73]
	v_mul_f64 v[117:118], v[105:106], s[18:19]
	v_mul_f64 v[105:106], v[105:106], s[10:11]
	v_add_f64 v[74:75], v[107:108], v[74:75]
	v_add_f64 v[52:53], v[52:53], v[56:57]
	v_mul_f64 v[56:57], v[94:95], s[4:5]
	v_mul_f64 v[107:108], v[90:91], s[10:11]
	v_add_f64 v[68:69], v[34:35], v[68:69]
	v_add_f64 v[70:71], v[32:33], v[70:71]
	;; [unrolled: 1-line block ×4, first 2 shown]
	v_mul_f64 v[101:102], v[90:91], s[4:5]
	v_add_f64 v[78:79], v[78:79], -v[80:81]
	v_add_f64 v[111:112], v[111:112], v[219:220]
	v_add_f64 v[131:132], v[217:218], -v[131:132]
	v_add_f64 v[60:61], v[235:236], v[60:61]
	v_mul_f64 v[235:236], v[88:89], s[6:7]
	v_add_f64 v[163:164], v[237:238], -v[163:164]
	v_add_f64 v[103:104], v[103:104], -v[195:196]
	v_add_f64 v[62:63], v[233:234], v[62:63]
	v_add_f64 v[50:51], v[54:55], v[50:51]
	v_add_f64 v[58:59], v[58:59], -v[225:226]
	v_add_f64 v[72:73], v[34:35], v[72:73]
	v_mul_f64 v[225:226], v[90:91], s[8:9]
	v_mul_f64 v[90:91], v[90:91], s[6:7]
	v_add_f64 v[34:35], v[34:35], v[74:75]
	v_mul_f64 v[74:75], v[96:97], s[8:9]
	v_add_f64 v[105:106], v[211:212], v[105:106]
	v_add_f64 v[117:118], v[169:170], v[117:118]
	;; [unrolled: 1-line block ×3, first 2 shown]
	v_mul_f64 v[229:230], v[88:89], s[8:9]
	v_mul_f64 v[88:89], v[88:89], s[4:5]
	v_add_f64 v[48:49], v[52:53], v[48:49]
	v_mul_f64 v[233:234], v[92:93], s[8:9]
	v_mul_f64 v[52:53], v[94:95], s[8:9]
	;; [unrolled: 1-line block ×3, first 2 shown]
	v_add_f64 v[66:67], v[231:232], v[66:67]
	v_mul_f64 v[231:232], v[94:95], s[18:19]
	v_add_f64 v[64:65], v[223:224], v[64:65]
	v_mul_f64 v[223:224], v[92:93], s[6:7]
	v_add_f64 v[227:228], v[241:242], -v[227:228]
	v_mul_f64 v[241:242], v[94:95], s[6:7]
	v_add_f64 v[101:102], v[215:216], v[101:102]
	v_mul_f64 v[215:216], v[94:95], s[10:11]
	v_mul_f64 v[94:95], v[94:95], s[16:17]
	v_add_f64 v[157:158], v[157:158], v[225:226]
	v_add_f64 v[90:91], v[179:180], v[90:91]
	v_add_f64 v[145:146], v[145:146], v[151:152]
	v_add_f64 v[74:75], v[74:75], -v[221:222]
	v_mul_f64 v[221:222], v[92:93], s[10:11]
	v_mul_f64 v[92:93], v[92:93], s[16:17]
	v_add_f64 v[68:69], v[105:106], v[68:69]
	v_add_f64 v[117:118], v[117:118], v[197:198]
	;; [unrolled: 1-line block ×4, first 2 shown]
	v_add_f64 v[82:83], v[113:114], -v[84:85]
	v_add_f64 v[32:33], v[78:79], v[32:33]
	v_add_f64 v[72:73], v[111:112], v[72:73]
	v_add_f64 v[111:112], v[252:253], -v[125:126]
	v_add_f64 v[76:77], v[109:110], v[76:77]
	v_add_f64 v[151:152], v[229:230], -v[153:154]
	;; [unrolled: 2-line block ×4, first 2 shown]
	v_add_f64 v[70:71], v[103:104], v[70:71]
	v_add_f64 v[46:47], v[50:51], v[46:47]
	;; [unrolled: 1-line block ×3, first 2 shown]
	v_mul_f64 v[211:212], v[96:97], s[18:19]
	v_add_f64 v[56:57], v[56:57], v[60:61]
	v_mul_f64 v[60:61], v[98:99], s[18:19]
	v_mul_f64 v[169:170], v[98:99], s[10:11]
	;; [unrolled: 1-line block ×4, first 2 shown]
	v_add_f64 v[48:49], v[209:210], v[94:95]
	v_add_f64 v[50:51], v[101:102], v[68:69]
	v_add_f64 v[68:69], v[92:93], -v[203:204]
	v_add_f64 v[92:93], v[183:184], v[215:216]
	v_add_f64 v[90:91], v[90:91], v[117:118]
	;; [unrolled: 1-line block ×6, first 2 shown]
	v_add_f64 v[86:87], v[233:234], -v[115:116]
	v_add_f64 v[32:33], v[82:83], v[32:33]
	v_add_f64 v[58:59], v[58:59], v[62:63]
	v_mul_f64 v[62:63], v[96:97], s[10:11]
	v_add_f64 v[109:110], v[147:148], v[231:232]
	v_add_f64 v[72:73], v[129:130], v[72:73]
	v_add_f64 v[54:55], v[54:55], -v[127:128]
	v_add_f64 v[76:77], v[111:112], v[76:77]
	v_mul_f64 v[237:238], v[96:97], s[4:5]
	v_mul_f64 v[219:220], v[96:97], s[16:17]
	;; [unrolled: 1-line block ×3, first 2 shown]
	v_add_f64 v[107:108], v[223:224], -v[161:162]
	v_add_f64 v[78:79], v[151:152], v[78:79]
	v_add_f64 v[94:95], v[221:222], -v[181:182]
	v_add_f64 v[82:83], v[177:178], v[84:85]
	v_add_f64 v[70:71], v[88:89], v[70:71]
	;; [unrolled: 1-line block ×4, first 2 shown]
	v_mul_f64 v[243:244], v[121:122], s[16:17]
	v_mul_f64 v[80:81], v[123:124], s[16:17]
	v_add_f64 v[56:57], v[64:65], v[56:57]
	v_mul_f64 v[64:65], v[123:124], s[6:7]
	v_mul_f64 v[217:218], v[123:124], s[18:19]
	;; [unrolled: 1-line block ×4, first 2 shown]
	v_add_f64 v[44:45], v[213:214], v[98:99]
	v_add_f64 v[46:47], v[48:49], v[50:51]
	;; [unrolled: 1-line block ×8, first 2 shown]
	v_add_f64 v[52:53], v[211:212], -v[135:136]
	v_add_f64 v[32:33], v[86:87], v[32:33]
	v_mul_f64 v[105:106], v[121:122], s[6:7]
	v_add_f64 v[98:99], v[143:144], v[169:170]
	v_add_f64 v[72:73], v[109:110], v[72:73]
	v_add_f64 v[62:63], v[62:63], -v[141:142]
	v_add_f64 v[54:55], v[54:55], v[76:77]
	v_add_f64 v[58:59], v[74:75], v[58:59]
	v_mul_f64 v[74:75], v[121:122], s[18:19]
	v_add_f64 v[48:49], v[96:97], -v[207:208]
	v_add_f64 v[96:97], v[237:238], -v[167:168]
	v_add_f64 v[76:77], v[107:108], v[78:79]
	v_mul_f64 v[195:196], v[121:122], s[4:5]
	v_add_f64 v[88:89], v[219:220], -v[185:186]
	v_add_f64 v[78:79], v[94:95], v[82:83]
	v_mul_f64 v[121:122], v[121:122], s[8:9]
	v_add_f64 v[68:69], v[68:69], v[70:71]
	v_add_f64 v[38:39], v[42:43], v[38:39]
	;; [unrolled: 1-line block ×10, first 2 shown]
	v_add_f64 v[90:91], v[243:244], -v[133:134]
	v_add_f64 v[32:33], v[52:53], v[32:33]
	v_add_f64 v[44:45], v[193:194], v[201:202]
	v_add_f64 v[64:65], v[159:160], v[64:65]
	v_add_f64 v[72:73], v[98:99], v[72:73]
	v_add_f64 v[86:87], v[105:106], -v[155:156]
	v_add_f64 v[52:53], v[62:63], v[54:55]
	v_add_f64 v[74:75], v[74:75], -v[173:174]
	v_add_f64 v[54:55], v[96:97], v[76:77]
	;; [unrolled: 2-line block ×4, first 2 shown]
	v_add_f64 v[76:77], v[38:39], v[30:31]
	v_add_f64 v[78:79], v[36:37], v[28:29]
	;; [unrolled: 1-line block ×11, first 2 shown]
	v_mov_b32_e32 v52, 4
	v_add_f64 v[40:41], v[74:75], v[54:55]
	v_add_f64 v[36:37], v[82:83], v[62:63]
	;; [unrolled: 1-line block ×5, first 2 shown]
	v_lshlrev_b32_sdwa v52, v52, v247 dst_sel:DWORD dst_unused:UNUSED_PAD src0_sel:DWORD src1_sel:WORD_0
	ds_write_b128 v52, v[20:23] offset:112
	ds_write_b128 v52, v[16:19] offset:128
	;; [unrolled: 1-line block ×11, first 2 shown]
	ds_write_b128 v52, v[24:27]
	ds_write_b128 v52, v[0:3] offset:192
.LBB0_7:
	s_or_b32 exec_lo, exec_lo, s20
	v_and_b32_e32 v24, 0xff, v246
	s_load_dwordx4 s[4:7], s[2:3], 0x0
	s_waitcnt lgkmcnt(0)
	s_barrier
	buffer_gl0_inv
	v_mul_lo_u16 v24, 0x4f, v24
	s_mov_b32 s8, 0x37e14327
	s_mov_b32 s18, 0xe976ee23
	s_mov_b32 s9, 0x3fe948f6
	s_mov_b32 s19, 0xbfe11646
	v_lshrrev_b16 v96, 10, v24
	s_mov_b32 s10, 0x429ad128
	s_mov_b32 s2, 0x36b3c0b5
	s_mov_b32 s11, 0x3febfeb5
	s_mov_b32 s3, 0x3fac98ee
	v_mul_lo_u16 v24, v96, 13
	s_mov_b32 s16, 0xaaaaaaaa
	s_mov_b32 s24, 0xb247c609
	;; [unrolled: 1-line block ×4, first 2 shown]
	v_sub_nc_u16 v24, v246, v24
	s_mov_b32 s25, 0x3fd5d0dc
	s_mov_b32 s21, 0x3fe77f67
	;; [unrolled: 1-line block ×4, first 2 shown]
	v_and_b32_e32 v97, 0xff, v24
	s_mov_b32 s22, s20
	s_mov_b32 s26, s24
	;; [unrolled: 1-line block ×4, first 2 shown]
	v_mul_u32_u24_e32 v24, 6, v97
	v_mov_b32_e32 v98, 0x5b
	v_lshlrev_b32_e32 v36, 4, v24
	s_clause 0x5
	global_load_dwordx4 v[28:31], v36, s[0:1]
	global_load_dwordx4 v[24:27], v36, s[0:1] offset:16
	global_load_dwordx4 v[32:35], v36, s[0:1] offset:80
	;; [unrolled: 1-line block ×5, first 2 shown]
	ds_read_b128 v[48:51], v245 offset:1456
	ds_read_b128 v[52:55], v245 offset:2912
	;; [unrolled: 1-line block ×6, first 2 shown]
	s_waitcnt vmcnt(5) lgkmcnt(5)
	v_mul_f64 v[72:73], v[50:51], v[30:31]
	v_mul_f64 v[74:75], v[48:49], v[30:31]
	s_waitcnt vmcnt(4) lgkmcnt(4)
	v_mul_f64 v[76:77], v[54:55], v[26:27]
	v_mul_f64 v[78:79], v[52:53], v[26:27]
	;; [unrolled: 3-line block ×6, first 2 shown]
	v_fma_f64 v[48:49], v[48:49], v[28:29], -v[72:73]
	v_fma_f64 v[50:51], v[50:51], v[28:29], v[74:75]
	v_fma_f64 v[52:53], v[52:53], v[24:25], -v[76:77]
	v_fma_f64 v[54:55], v[54:55], v[24:25], v[78:79]
	;; [unrolled: 2-line block ×6, first 2 shown]
	v_add_f64 v[72:73], v[48:49], v[56:57]
	v_add_f64 v[74:75], v[50:51], v[58:59]
	v_add_f64 v[76:77], v[52:53], v[60:61]
	v_add_f64 v[78:79], v[54:55], v[62:63]
	v_add_f64 v[52:53], v[52:53], -v[60:61]
	v_add_f64 v[54:55], v[54:55], -v[62:63]
	v_add_f64 v[60:61], v[64:65], v[68:69]
	v_add_f64 v[62:63], v[66:67], v[70:71]
	v_add_f64 v[64:65], v[68:69], -v[64:65]
	v_add_f64 v[66:67], v[70:71], -v[66:67]
	v_add_f64 v[56:57], v[48:49], -v[56:57]
	v_add_f64 v[58:59], v[50:51], -v[58:59]
	ds_read_b128 v[48:51], v245
	s_waitcnt lgkmcnt(0)
	s_barrier
	buffer_gl0_inv
	v_add_f64 v[68:69], v[76:77], v[72:73]
	v_add_f64 v[70:71], v[78:79], v[74:75]
	v_add_f64 v[80:81], v[72:73], -v[60:61]
	v_add_f64 v[82:83], v[74:75], -v[62:63]
	;; [unrolled: 1-line block ×6, first 2 shown]
	v_add_f64 v[52:53], v[64:65], v[52:53]
	v_add_f64 v[54:55], v[66:67], v[54:55]
	v_add_f64 v[64:65], v[56:57], -v[64:65]
	v_add_f64 v[66:67], v[58:59], -v[66:67]
	;; [unrolled: 1-line block ×4, first 2 shown]
	v_add_f64 v[68:69], v[60:61], v[68:69]
	v_add_f64 v[70:71], v[62:63], v[70:71]
	v_add_f64 v[60:61], v[60:61], -v[76:77]
	v_add_f64 v[62:63], v[62:63], -v[78:79]
	v_mul_f64 v[80:81], v[80:81], s[8:9]
	v_mul_f64 v[82:83], v[82:83], s[8:9]
	;; [unrolled: 1-line block ×6, first 2 shown]
	v_add_f64 v[52:53], v[52:53], v[56:57]
	v_add_f64 v[54:55], v[54:55], v[58:59]
	;; [unrolled: 1-line block ×4, first 2 shown]
	v_mul_f64 v[76:77], v[60:61], s[2:3]
	v_mul_f64 v[78:79], v[62:63], s[2:3]
	v_fma_f64 v[56:57], v[60:61], s[2:3], v[80:81]
	v_fma_f64 v[58:59], v[62:63], s[2:3], v[82:83]
	;; [unrolled: 1-line block ×4, first 2 shown]
	v_fma_f64 v[64:65], v[64:65], s[26:27], -v[92:93]
	v_fma_f64 v[66:67], v[66:67], s[26:27], -v[94:95]
	;; [unrolled: 1-line block ×6, first 2 shown]
	v_fma_f64 v[68:69], v[68:69], s[16:17], v[48:49]
	v_fma_f64 v[70:71], v[70:71], s[16:17], v[50:51]
	v_fma_f64 v[72:73], v[72:73], s[20:21], -v[76:77]
	v_fma_f64 v[74:75], v[74:75], s[20:21], -v[78:79]
	v_fma_f64 v[76:77], v[52:53], s[28:29], v[60:61]
	v_fma_f64 v[78:79], v[54:55], s[28:29], v[62:63]
	;; [unrolled: 1-line block ×6, first 2 shown]
	v_add_f64 v[92:93], v[56:57], v[68:69]
	v_add_f64 v[94:95], v[58:59], v[70:71]
	;; [unrolled: 1-line block ×7, first 2 shown]
	v_add_f64 v[54:55], v[94:95], -v[76:77]
	v_add_f64 v[56:57], v[90:91], v[80:81]
	v_add_f64 v[58:59], v[82:83], -v[88:89]
	v_add_f64 v[60:61], v[64:65], -v[86:87]
	v_add_f64 v[62:63], v[84:85], v[66:67]
	v_add_f64 v[64:65], v[86:87], v[64:65]
	v_add_f64 v[66:67], v[66:67], -v[84:85]
	v_add_f64 v[68:69], v[80:81], -v[90:91]
	v_add_f64 v[70:71], v[88:89], v[82:83]
	v_add_f64 v[72:73], v[92:93], -v[78:79]
	v_add_f64 v[74:75], v[76:77], v[94:95]
	v_mul_u32_u24_sdwa v76, v96, v98 dst_sel:DWORD dst_unused:UNUSED_PAD src0_sel:WORD_0 src1_sel:DWORD
	v_add_lshl_u32 v149, v76, v97, 4
	v_mad_u64_u32 v[76:77], null, 0x60, v246, s[0:1]
	ds_write_b128 v149, v[48:51]
	ds_write_b128 v149, v[52:55] offset:208
	ds_write_b128 v149, v[56:59] offset:416
	;; [unrolled: 1-line block ×6, first 2 shown]
	s_waitcnt lgkmcnt(0)
	s_barrier
	buffer_gl0_inv
	s_clause 0x5
	global_load_dwordx4 v[52:55], v[76:77], off offset:1248
	global_load_dwordx4 v[48:51], v[76:77], off offset:1264
	;; [unrolled: 1-line block ×6, first 2 shown]
	ds_read_b128 v[72:75], v245 offset:1456
	ds_read_b128 v[76:79], v245 offset:2912
	;; [unrolled: 1-line block ×6, first 2 shown]
	s_waitcnt vmcnt(5) lgkmcnt(5)
	v_mul_f64 v[96:97], v[74:75], v[54:55]
	v_mul_f64 v[98:99], v[72:73], v[54:55]
	s_waitcnt vmcnt(4) lgkmcnt(4)
	v_mul_f64 v[101:102], v[78:79], v[50:51]
	v_mul_f64 v[103:104], v[76:77], v[50:51]
	;; [unrolled: 3-line block ×6, first 2 shown]
	v_fma_f64 v[72:73], v[72:73], v[52:53], -v[96:97]
	v_fma_f64 v[74:75], v[74:75], v[52:53], v[98:99]
	v_fma_f64 v[76:77], v[76:77], v[48:49], -v[101:102]
	v_fma_f64 v[78:79], v[78:79], v[48:49], v[103:104]
	;; [unrolled: 2-line block ×6, first 2 shown]
	v_add_f64 v[96:97], v[72:73], v[80:81]
	v_add_f64 v[98:99], v[74:75], v[82:83]
	;; [unrolled: 1-line block ×4, first 2 shown]
	v_add_f64 v[76:77], v[76:77], -v[84:85]
	v_add_f64 v[78:79], v[78:79], -v[86:87]
	v_add_f64 v[84:85], v[88:89], v[92:93]
	v_add_f64 v[86:87], v[90:91], v[94:95]
	v_add_f64 v[88:89], v[92:93], -v[88:89]
	v_add_f64 v[90:91], v[94:95], -v[90:91]
	;; [unrolled: 1-line block ×4, first 2 shown]
	v_add_f64 v[72:73], v[101:102], v[96:97]
	v_add_f64 v[74:75], v[103:104], v[98:99]
	v_add_f64 v[92:93], v[96:97], -v[84:85]
	v_add_f64 v[94:95], v[98:99], -v[86:87]
	;; [unrolled: 1-line block ×6, first 2 shown]
	v_add_f64 v[76:77], v[88:89], v[76:77]
	v_add_f64 v[78:79], v[90:91], v[78:79]
	v_add_f64 v[88:89], v[80:81], -v[88:89]
	v_add_f64 v[90:91], v[82:83], -v[90:91]
	;; [unrolled: 1-line block ×4, first 2 shown]
	v_add_f64 v[113:114], v[84:85], v[72:73]
	v_add_f64 v[115:116], v[86:87], v[74:75]
	v_add_f64 v[84:85], v[84:85], -v[101:102]
	v_add_f64 v[86:87], v[86:87], -v[103:104]
	ds_read_b128 v[72:75], v245
	v_mul_f64 v[92:93], v[92:93], s[8:9]
	v_mul_f64 v[94:95], v[94:95], s[8:9]
	;; [unrolled: 1-line block ×6, first 2 shown]
	v_add_f64 v[76:77], v[76:77], v[80:81]
	v_add_f64 v[78:79], v[78:79], v[82:83]
	s_waitcnt lgkmcnt(0)
	v_add_f64 v[72:73], v[72:73], v[113:114]
	v_add_f64 v[74:75], v[74:75], v[115:116]
	v_mul_f64 v[101:102], v[84:85], s[2:3]
	v_mul_f64 v[103:104], v[86:87], s[2:3]
	v_fma_f64 v[80:81], v[84:85], s[2:3], v[92:93]
	v_fma_f64 v[82:83], v[86:87], s[2:3], v[94:95]
	;; [unrolled: 1-line block ×4, first 2 shown]
	v_fma_f64 v[105:106], v[109:110], s[10:11], -v[105:106]
	v_fma_f64 v[107:108], v[111:112], s[10:11], -v[107:108]
	;; [unrolled: 1-line block ×6, first 2 shown]
	v_fma_f64 v[109:110], v[113:114], s[16:17], v[72:73]
	v_fma_f64 v[111:112], v[115:116], s[16:17], v[74:75]
	v_fma_f64 v[96:97], v[96:97], s[20:21], -v[101:102]
	v_fma_f64 v[98:99], v[98:99], s[20:21], -v[103:104]
	v_fma_f64 v[101:102], v[76:77], s[28:29], v[84:85]
	v_fma_f64 v[103:104], v[78:79], s[28:29], v[86:87]
	v_fma_f64 v[86:87], v[76:77], s[28:29], v[105:106]
	v_fma_f64 v[84:85], v[78:79], s[28:29], v[107:108]
	v_fma_f64 v[76:77], v[76:77], s[28:29], v[88:89]
	v_fma_f64 v[78:79], v[78:79], s[28:29], v[90:91]
	v_add_f64 v[105:106], v[80:81], v[109:110]
	v_add_f64 v[107:108], v[82:83], v[111:112]
	;; [unrolled: 1-line block ×7, first 2 shown]
	v_add_f64 v[98:99], v[107:108], -v[101:102]
	v_add_f64 v[92:93], v[78:79], v[80:81]
	v_add_f64 v[94:95], v[82:83], -v[76:77]
	v_add_f64 v[88:89], v[109:110], -v[84:85]
	v_add_f64 v[90:91], v[86:87], v[111:112]
	v_add_f64 v[84:85], v[84:85], v[109:110]
	v_add_f64 v[86:87], v[111:112], -v[86:87]
	v_add_f64 v[80:81], v[80:81], -v[78:79]
	v_add_f64 v[82:83], v[76:77], v[82:83]
	v_add_f64 v[76:77], v[105:106], -v[103:104]
	v_add_f64 v[78:79], v[101:102], v[107:108]
	ds_write_b128 v245, v[72:75]
	ds_write_b128 v245, v[96:99] offset:1456
	ds_write_b128 v245, v[92:95] offset:2912
	;; [unrolled: 1-line block ×6, first 2 shown]
	s_waitcnt lgkmcnt(0)
	s_barrier
	buffer_gl0_inv
	s_and_saveexec_b32 s1, vcc_lo
	s_cbranch_execz .LBB0_9
; %bb.8:
	v_add_co_u32 v137, s0, s14, v245
	v_add_co_ci_u32_e64 v138, null, s15, 0, s0
	v_add_co_u32 v105, s0, 0x27d0, v137
	v_add_co_ci_u32_e64 v106, s0, 0, v138, s0
	v_add_co_u32 v109, s0, 0x2000, v137
	v_add_co_ci_u32_e64 v110, s0, 0, v138, s0
	;; [unrolled: 2-line block ×3, first 2 shown]
	s_clause 0x3
	global_load_dwordx4 v[101:104], v[105:106], off offset:784
	global_load_dwordx4 v[105:108], v[105:106], off offset:1568
	;; [unrolled: 1-line block ×4, first 2 shown]
	v_add_co_u32 v129, s0, 0x3800, v137
	v_add_co_ci_u32_e64 v130, s0, 0, v138, s0
	v_add_co_u32 v141, s0, 0x4000, v137
	v_add_co_ci_u32_e64 v142, s0, 0, v138, s0
	v_add_co_u32 v150, s0, 0x4800, v137
	s_clause 0x4
	global_load_dwordx4 v[117:120], v[121:122], off offset:1040
	global_load_dwordx4 v[121:124], v[121:122], off offset:1824
	;; [unrolled: 1-line block ×5, first 2 shown]
	v_add_co_ci_u32_e64 v151, s0, 0, v138, s0
	s_clause 0x3
	global_load_dwordx4 v[137:140], v[141:142], off offset:864
	global_load_dwordx4 v[141:144], v[141:142], off offset:1648
	;; [unrolled: 1-line block ×4, first 2 shown]
	ds_read_b128 v[154:157], v245
	ds_read_b128 v[158:161], v245 offset:784
	ds_read_b128 v[162:165], v245 offset:1568
	;; [unrolled: 1-line block ×12, first 2 shown]
	s_waitcnt vmcnt(12) lgkmcnt(11)
	v_mul_f64 v[208:209], v[160:161], v[103:104]
	v_mul_f64 v[103:104], v[158:159], v[103:104]
	s_waitcnt vmcnt(10)
	v_mul_f64 v[206:207], v[156:157], v[111:112]
	v_mul_f64 v[111:112], v[154:155], v[111:112]
	s_waitcnt lgkmcnt(10)
	v_mul_f64 v[210:211], v[164:165], v[107:108]
	v_mul_f64 v[212:213], v[162:163], v[107:108]
	s_waitcnt vmcnt(9) lgkmcnt(9)
	v_mul_f64 v[214:215], v[168:169], v[115:116]
	v_mul_f64 v[115:116], v[166:167], v[115:116]
	s_waitcnt vmcnt(8) lgkmcnt(8)
	;; [unrolled: 3-line block ×10, first 2 shown]
	v_mul_f64 v[232:233], v[204:205], v[152:153]
	v_mul_f64 v[234:235], v[202:203], v[152:153]
	v_fma_f64 v[107:108], v[154:155], v[109:110], -v[206:207]
	v_fma_f64 v[109:110], v[156:157], v[109:110], v[111:112]
	v_fma_f64 v[152:153], v[158:159], v[101:102], -v[208:209]
	v_fma_f64 v[154:155], v[160:161], v[101:102], v[103:104]
	;; [unrolled: 2-line block ×13, first 2 shown]
	ds_write_b128 v245, v[107:110]
	ds_write_b128 v245, v[152:155] offset:784
	ds_write_b128 v245, v[101:104] offset:1568
	;; [unrolled: 1-line block ×12, first 2 shown]
.LBB0_9:
	s_or_b32 exec_lo, exec_lo, s1
	s_waitcnt lgkmcnt(0)
	s_barrier
	buffer_gl0_inv
	s_and_saveexec_b32 s0, vcc_lo
	s_cbranch_execz .LBB0_11
; %bb.10:
	ds_read_b128 v[72:75], v245
	ds_read_b128 v[96:99], v245 offset:784
	ds_read_b128 v[92:95], v245 offset:1568
	;; [unrolled: 1-line block ×12, first 2 shown]
.LBB0_11:
	s_or_b32 exec_lo, exec_lo, s0
	s_waitcnt lgkmcnt(0)
	s_barrier
	buffer_gl0_inv
	s_and_saveexec_b32 s33, vcc_lo
	s_cbranch_execz .LBB0_13
; %bb.12:
	v_add_f64 v[113:114], v[96:97], -v[0:1]
	v_add_f64 v[133:134], v[98:99], -v[2:3]
	s_mov_b32 s8, 0x4bc48dbf
	s_mov_b32 s9, 0xbfcea1e5
	v_add_f64 v[131:132], v[92:93], -v[4:5]
	v_add_f64 v[129:130], v[94:95], -v[6:7]
	v_add_f64 v[121:122], v[98:99], v[2:3]
	v_add_f64 v[119:120], v[96:97], v[0:1]
	s_mov_b32 s0, 0x93053d00
	s_mov_b32 s29, 0x3fddbe06
	;; [unrolled: 1-line block ×4, first 2 shown]
	v_add_f64 v[123:124], v[88:89], -v[8:9]
	v_add_f64 v[115:116], v[94:95], v[6:7]
	v_add_f64 v[127:128], v[90:91], -v[10:11]
	v_add_f64 v[117:118], v[92:93], v[4:5]
	s_mov_b32 s18, 0x24c2f84
	s_mov_b32 s19, 0xbfe5384d
	;; [unrolled: 1-line block ×4, first 2 shown]
	v_add_f64 v[111:112], v[84:85], -v[12:13]
	v_add_f64 v[141:142], v[90:91], v[10:11]
	v_mul_f64 v[125:126], v[113:114], s[8:9]
	v_mul_f64 v[135:136], v[133:134], s[8:9]
	;; [unrolled: 1-line block ×6, first 2 shown]
	v_add_f64 v[147:148], v[86:87], -v[14:15]
	v_add_f64 v[143:144], v[88:89], v[8:9]
	s_mov_b32 s16, 0x66966769
	s_mov_b32 s24, 0xd0032e0c
	;; [unrolled: 1-line block ×4, first 2 shown]
	v_mul_f64 v[156:157], v[123:124], s[18:19]
	s_mov_b32 s30, 0x42a4c3d2
	v_mul_f64 v[158:159], v[127:128], s[18:19]
	s_mov_b32 s31, 0x3fea55e2
	v_mul_f64 v[162:163], v[129:130], s[16:17]
	v_add_f64 v[109:110], v[80:81], -v[16:17]
	v_add_f64 v[107:108], v[86:87], v[14:15]
	v_mul_f64 v[160:161], v[131:132], s[16:17]
	v_mul_f64 v[180:181], v[111:112], s[30:31]
	s_mov_b32 s2, 0xebaa3ed8
	v_fma_f64 v[145:146], v[121:122], s[0:1], v[125:126]
	v_fma_f64 v[154:155], v[119:120], s[0:1], -v[135:136]
	v_fma_f64 v[125:126], v[121:122], s[0:1], -v[125:126]
	v_fma_f64 v[135:136], v[119:120], s[0:1], v[135:136]
	v_fma_f64 v[164:165], v[115:116], s[22:23], v[137:138]
	v_fma_f64 v[166:167], v[117:118], s[22:23], -v[139:140]
	v_fma_f64 v[137:138], v[115:116], s[22:23], -v[137:138]
	v_fma_f64 v[168:169], v[117:118], s[22:23], v[139:140]
	v_fma_f64 v[172:173], v[119:120], s[24:25], -v[152:153]
	v_fma_f64 v[170:171], v[121:122], s[24:25], v[150:151]
	v_add_f64 v[139:140], v[84:85], v[12:13]
	v_mul_f64 v[182:183], v[147:148], s[30:31]
	v_fma_f64 v[188:189], v[141:142], s[24:25], v[156:157]
	v_fma_f64 v[156:157], v[141:142], s[24:25], -v[156:157]
	v_fma_f64 v[190:191], v[143:144], s[24:25], -v[158:159]
	v_fma_f64 v[158:159], v[143:144], s[24:25], v[158:159]
	s_mov_b32 s3, 0x3fbedb7d
	s_mov_b32 s35, 0xbfea55e2
	;; [unrolled: 1-line block ×6, first 2 shown]
	v_add_f64 v[174:175], v[74:75], v[145:146]
	v_add_f64 v[154:155], v[72:73], v[154:155]
	;; [unrolled: 1-line block ×4, first 2 shown]
	v_add_f64 v[145:146], v[82:83], -v[18:19]
	s_mov_b32 s27, 0x3fe22d96
	v_mul_f64 v[186:187], v[127:128], s[34:35]
	v_fma_f64 v[194:195], v[117:118], s[2:3], -v[162:163]
	v_add_f64 v[172:173], v[72:73], v[172:173]
	v_add_f64 v[105:106], v[76:77], -v[20:21]
	v_add_f64 v[103:104], v[82:83], v[18:19]
	v_add_f64 v[135:136], v[78:79], -v[22:23]
	v_mul_f64 v[184:185], v[123:124], s[34:35]
	v_fma_f64 v[192:193], v[115:116], s[2:3], v[160:161]
	v_add_f64 v[170:171], v[74:75], v[170:171]
	v_fma_f64 v[198:199], v[107:108], s[26:27], v[180:181]
	v_fma_f64 v[200:201], v[139:140], s[26:27], -v[182:183]
	v_fma_f64 v[180:181], v[107:108], s[26:27], -v[180:181]
	v_fma_f64 v[182:183], v[139:140], s[26:27], v[182:183]
	s_mov_b32 s41, 0x3fcea1e5
	s_mov_b32 s40, s8
	;; [unrolled: 1-line block ×3, first 2 shown]
	v_add_f64 v[164:165], v[164:165], v[174:175]
	v_add_f64 v[154:155], v[166:167], v[154:155]
	;; [unrolled: 1-line block ×5, first 2 shown]
	v_mul_f64 v[174:175], v[109:110], s[20:21]
	v_mul_f64 v[176:177], v[145:146], s[20:21]
	s_mov_b32 s11, 0xbfd6b1d8
	v_mul_f64 v[196:197], v[147:148], s[40:41]
	v_fma_f64 v[204:205], v[143:144], s[26:27], -v[186:187]
	v_add_f64 v[172:173], v[194:195], v[172:173]
	v_add_f64 v[101:102], v[78:79], v[22:23]
	;; [unrolled: 1-line block ×3, first 2 shown]
	v_mul_f64 v[178:179], v[111:112], s[40:41]
	v_fma_f64 v[202:203], v[141:142], s[26:27], v[184:185]
	v_add_f64 v[170:171], v[192:193], v[170:171]
	v_fma_f64 v[150:151], v[121:122], s[24:25], -v[150:151]
	v_mul_f64 v[206:207], v[113:114], s[20:21]
	v_fma_f64 v[152:153], v[119:120], s[24:25], v[152:153]
	s_mov_b32 s39, 0xbfefc445
	s_mov_b32 s38, s16
	;; [unrolled: 1-line block ×3, first 2 shown]
	v_add_f64 v[164:165], v[188:189], v[164:165]
	v_add_f64 v[154:155], v[190:191], v[154:155]
	;; [unrolled: 1-line block ×4, first 2 shown]
	v_mul_f64 v[166:167], v[105:106], s[16:17]
	v_mul_f64 v[168:169], v[135:136], s[16:17]
	v_fma_f64 v[208:209], v[103:104], s[10:11], v[174:175]
	v_fma_f64 v[210:211], v[137:138], s[10:11], -v[176:177]
	v_fma_f64 v[174:175], v[103:104], s[10:11], -v[174:175]
	v_fma_f64 v[176:177], v[137:138], s[10:11], v[176:177]
	v_fma_f64 v[214:215], v[139:140], s[0:1], -v[196:197]
	v_add_f64 v[172:173], v[204:205], v[172:173]
	v_mul_f64 v[190:191], v[109:110], s[28:29]
	v_mul_f64 v[194:195], v[145:146], s[28:29]
	v_fma_f64 v[212:213], v[107:108], s[0:1], v[178:179]
	v_add_f64 v[170:171], v[202:203], v[170:171]
	v_fma_f64 v[160:161], v[115:116], s[2:3], -v[160:161]
	v_add_f64 v[150:151], v[74:75], v[150:151]
	v_mul_f64 v[202:203], v[113:114], s[38:39]
	v_fma_f64 v[218:219], v[121:122], s[10:11], v[206:207]
	v_fma_f64 v[162:163], v[117:118], s[2:3], v[162:163]
	v_add_f64 v[152:153], v[72:73], v[152:153]
	v_add_f64 v[164:165], v[198:199], v[164:165]
	v_add_f64 v[154:155], v[200:201], v[154:155]
	v_add_f64 v[156:157], v[180:181], v[156:157]
	v_add_f64 v[158:159], v[182:183], v[158:159]
	v_mul_f64 v[200:201], v[133:134], s[20:21]
	v_mul_f64 v[182:183], v[131:132], s[36:37]
	v_fma_f64 v[204:205], v[101:102], s[2:3], v[166:167]
	v_fma_f64 v[216:217], v[125:126], s[2:3], -v[168:169]
	v_fma_f64 v[166:167], v[101:102], s[2:3], -v[166:167]
	v_fma_f64 v[168:169], v[125:126], s[2:3], v[168:169]
	v_mul_f64 v[198:199], v[129:130], s[36:37]
	v_add_f64 v[172:173], v[214:215], v[172:173]
	v_fma_f64 v[206:207], v[121:122], s[10:11], -v[206:207]
	v_fma_f64 v[220:221], v[103:104], s[22:23], v[190:191]
	v_fma_f64 v[222:223], v[137:138], s[22:23], -v[194:195]
	v_add_f64 v[170:171], v[212:213], v[170:171]
	v_fma_f64 v[186:187], v[143:144], s[26:27], v[186:187]
	v_add_f64 v[160:161], v[160:161], v[150:151]
	v_add_f64 v[98:99], v[74:75], v[98:99]
	;; [unrolled: 1-line block ×9, first 2 shown]
	v_fma_f64 v[174:175], v[141:142], s[26:27], -v[184:185]
	v_mul_f64 v[184:185], v[133:134], s[38:39]
	v_fma_f64 v[214:215], v[119:120], s[10:11], -v[200:201]
	v_mul_f64 v[176:177], v[131:132], s[8:9]
	v_fma_f64 v[212:213], v[115:116], s[24:25], v[182:183]
	v_fma_f64 v[200:201], v[119:120], s[10:11], v[200:201]
	v_mul_f64 v[180:181], v[123:124], s[28:29]
	v_fma_f64 v[182:183], v[115:116], s[24:25], -v[182:183]
	v_add_f64 v[206:207], v[74:75], v[206:207]
	s_mov_b32 s43, 0x3fedeba7
	s_mov_b32 s42, s20
	v_fma_f64 v[178:179], v[107:108], s[0:1], -v[178:179]
	v_add_f64 v[170:171], v[220:221], v[170:171]
	v_add_f64 v[172:173], v[222:223], v[172:173]
	v_fma_f64 v[196:197], v[139:140], s[0:1], v[196:197]
	v_mul_f64 v[220:221], v[127:128], s[42:43]
	v_add_f64 v[94:95], v[98:99], v[94:95]
	v_add_f64 v[162:163], v[186:187], v[162:163]
	v_add_f64 v[152:153], v[204:205], v[164:165]
	v_add_f64 v[150:151], v[216:217], v[154:155]
	v_add_f64 v[156:157], v[166:167], v[156:157]
	v_add_f64 v[154:155], v[168:169], v[158:159]
	v_fma_f64 v[158:159], v[121:122], s[2:3], v[202:203]
	v_mul_f64 v[164:165], v[129:130], s[8:9]
	v_fma_f64 v[166:167], v[119:120], s[2:3], -v[184:185]
	v_mul_f64 v[204:205], v[127:128], s[28:29]
	v_fma_f64 v[216:217], v[117:118], s[24:25], -v[198:199]
	v_add_f64 v[214:215], v[72:73], v[214:215]
	v_add_f64 v[160:161], v[174:175], v[160:161]
	;; [unrolled: 1-line block ×3, first 2 shown]
	v_fma_f64 v[198:199], v[117:118], s[24:25], v[198:199]
	v_add_f64 v[200:201], v[72:73], v[200:201]
	v_mul_f64 v[186:187], v[123:124], s[42:43]
	v_fma_f64 v[218:219], v[115:116], s[0:1], v[176:177]
	v_add_f64 v[92:93], v[96:97], v[92:93]
	v_mul_f64 v[168:169], v[111:112], s[38:39]
	v_fma_f64 v[174:175], v[141:142], s[22:23], v[180:181]
	v_mul_f64 v[228:229], v[147:148], s[38:39]
	v_fma_f64 v[98:99], v[141:142], s[22:23], -v[180:181]
	v_add_f64 v[180:181], v[182:183], v[206:207]
	v_fma_f64 v[190:191], v[103:104], s[22:23], -v[190:191]
	v_fma_f64 v[96:97], v[137:138], s[22:23], v[194:195]
	v_add_f64 v[162:163], v[196:197], v[162:163]
	v_mul_f64 v[196:197], v[111:112], s[28:29]
	v_add_f64 v[158:159], v[74:75], v[158:159]
	v_fma_f64 v[222:223], v[117:118], s[0:1], -v[164:165]
	v_add_f64 v[166:167], v[72:73], v[166:167]
	v_fma_f64 v[230:231], v[143:144], s[22:23], -v[204:205]
	v_fma_f64 v[182:183], v[143:144], s[22:23], v[204:205]
	v_add_f64 v[214:215], v[216:217], v[214:215]
	v_add_f64 v[160:161], v[178:179], v[160:161]
	v_fma_f64 v[178:179], v[121:122], s[2:3], -v[202:203]
	v_fma_f64 v[202:203], v[143:144], s[10:11], -v[220:221]
	v_add_f64 v[194:195], v[198:199], v[200:201]
	v_fma_f64 v[198:199], v[141:142], s[10:11], v[186:187]
	v_mul_f64 v[200:201], v[147:148], s[28:29]
	v_add_f64 v[90:91], v[94:95], v[90:91]
	v_add_f64 v[88:89], v[92:93], v[88:89]
	;; [unrolled: 1-line block ×3, first 2 shown]
	v_mul_f64 v[212:213], v[145:146], s[40:41]
	v_fma_f64 v[216:217], v[139:140], s[2:3], -v[228:229]
	v_fma_f64 v[92:93], v[107:108], s[2:3], -v[168:169]
	v_add_f64 v[98:99], v[98:99], v[180:181]
	v_fma_f64 v[226:227], v[107:108], s[2:3], v[168:169]
	v_fma_f64 v[94:95], v[115:116], s[0:1], -v[176:177]
	v_fma_f64 v[176:177], v[139:140], s[2:3], v[228:229]
	v_add_f64 v[158:159], v[218:219], v[158:159]
	v_mul_f64 v[180:181], v[109:110], s[34:35]
	v_add_f64 v[166:167], v[222:223], v[166:167]
	v_mul_f64 v[224:225], v[109:110], s[40:41]
	v_mul_f64 v[204:205], v[105:106], s[30:31]
	v_add_f64 v[214:215], v[230:231], v[214:215]
	v_add_f64 v[160:161], v[190:191], v[160:161]
	;; [unrolled: 1-line block ×3, first 2 shown]
	v_mul_f64 v[190:191], v[145:146], s[34:35]
	v_add_f64 v[178:179], v[182:183], v[194:195]
	v_fma_f64 v[182:183], v[107:108], s[22:23], v[196:197]
	v_fma_f64 v[194:195], v[139:140], s[22:23], -v[200:201]
	v_add_f64 v[86:87], v[90:91], v[86:87]
	v_add_f64 v[84:85], v[88:89], v[84:85]
	v_fma_f64 v[90:91], v[141:142], s[10:11], -v[186:187]
	v_mul_f64 v[218:219], v[135:136], s[30:31]
	v_add_f64 v[96:97], v[96:97], v[162:163]
	v_fma_f64 v[196:197], v[107:108], s[22:23], -v[196:197]
	v_add_f64 v[92:93], v[92:93], v[98:99]
	v_fma_f64 v[98:99], v[137:138], s[0:1], v[212:213]
	v_add_f64 v[174:175], v[226:227], v[174:175]
	v_mul_f64 v[188:189], v[105:106], s[20:21]
	v_add_f64 v[158:159], v[198:199], v[158:159]
	v_fma_f64 v[198:199], v[137:138], s[0:1], -v[212:213]
	v_add_f64 v[166:167], v[202:203], v[166:167]
	v_mul_f64 v[212:213], v[105:106], s[28:29]
	v_fma_f64 v[206:207], v[103:104], s[0:1], v[224:225]
	v_add_f64 v[202:203], v[216:217], v[214:215]
	v_mul_f64 v[214:215], v[135:136], s[28:29]
	s_mov_b32 s29, 0xbfddbe06
	v_add_f64 v[94:95], v[94:95], v[168:169]
	v_add_f64 v[168:169], v[176:177], v[178:179]
	v_fma_f64 v[178:179], v[119:120], s[2:3], v[184:185]
	v_fma_f64 v[184:185], v[103:104], s[26:27], v[180:181]
	v_fma_f64 v[186:187], v[137:138], s[26:27], -v[190:191]
	v_add_f64 v[82:83], v[86:87], v[82:83]
	v_add_f64 v[80:81], v[84:85], v[80:81]
	v_mul_f64 v[84:85], v[133:134], s[28:29]
	v_mul_f64 v[86:87], v[133:134], s[34:35]
	v_fma_f64 v[88:89], v[103:104], s[0:1], -v[224:225]
	v_fma_f64 v[133:134], v[117:118], s[0:1], v[164:165]
	v_fma_f64 v[162:163], v[101:102], s[26:27], v[204:205]
	v_mul_f64 v[176:177], v[105:106], s[18:19]
	v_mul_f64 v[105:106], v[105:106], s[8:9]
	v_add_f64 v[158:159], v[182:183], v[158:159]
	v_fma_f64 v[180:181], v[103:104], s[26:27], -v[180:181]
	v_add_f64 v[166:167], v[194:195], v[166:167]
	v_mul_f64 v[194:195], v[113:114], s[34:35]
	v_mul_f64 v[113:114], v[113:114], s[28:29]
	v_add_f64 v[198:199], v[198:199], v[202:203]
	v_add_f64 v[174:175], v[206:207], v[174:175]
	v_fma_f64 v[206:207], v[125:126], s[26:27], -v[218:219]
	v_add_f64 v[90:91], v[90:91], v[94:95]
	v_fma_f64 v[94:95], v[101:102], s[26:27], -v[204:205]
	v_add_f64 v[164:165], v[72:73], v[178:179]
	v_mul_f64 v[204:205], v[129:130], s[20:21]
	v_mul_f64 v[129:130], v[129:130], s[34:35]
	v_add_f64 v[78:79], v[82:83], v[78:79]
	v_add_f64 v[76:77], v[80:81], v[76:77]
	v_fma_f64 v[80:81], v[119:120], s[22:23], v[84:85]
	v_fma_f64 v[82:83], v[119:120], s[26:27], v[86:87]
	v_fma_f64 v[86:87], v[119:120], s[26:27], -v[86:87]
	v_fma_f64 v[84:85], v[119:120], s[22:23], -v[84:85]
	v_add_f64 v[88:89], v[88:89], v[92:93]
	v_fma_f64 v[92:93], v[125:126], s[26:27], v[218:219]
	v_mul_f64 v[119:120], v[127:128], s[8:9]
	v_add_f64 v[158:159], v[184:185], v[158:159]
	v_mul_f64 v[184:185], v[131:132], s[20:21]
	v_add_f64 v[166:167], v[186:187], v[166:167]
	v_fma_f64 v[202:203], v[121:122], s[26:27], -v[194:195]
	v_mul_f64 v[131:132], v[131:132], s[34:35]
	v_fma_f64 v[186:187], v[121:122], s[22:23], -v[113:114]
	v_fma_f64 v[194:195], v[121:122], s[26:27], v[194:195]
	v_fma_f64 v[113:114], v[121:122], s[22:23], v[113:114]
	v_mul_f64 v[121:122], v[123:124], s[8:9]
	v_mul_f64 v[123:124], v[123:124], s[38:39]
	v_add_f64 v[133:134], v[133:134], v[164:165]
	v_add_f64 v[90:91], v[196:197], v[90:91]
	v_fma_f64 v[196:197], v[139:140], s[22:23], v[200:201]
	v_add_f64 v[22:23], v[78:79], v[22:23]
	v_add_f64 v[20:21], v[76:77], v[20:21]
	v_fma_f64 v[200:201], v[143:144], s[10:11], v[220:221]
	v_mul_f64 v[127:128], v[127:128], s[38:39]
	v_fma_f64 v[220:221], v[117:118], s[26:27], v[129:130]
	v_add_f64 v[76:77], v[72:73], v[80:81]
	v_fma_f64 v[216:217], v[117:118], s[10:11], v[204:205]
	v_add_f64 v[78:79], v[72:73], v[82:83]
	v_add_f64 v[86:87], v[72:73], v[86:87]
	;; [unrolled: 1-line block ×3, first 2 shown]
	v_fma_f64 v[164:165], v[115:116], s[10:11], -v[184:185]
	v_fma_f64 v[82:83], v[115:116], s[10:11], v[184:185]
	v_add_f64 v[202:203], v[74:75], v[202:203]
	v_fma_f64 v[218:219], v[115:116], s[26:27], -v[131:132]
	v_add_f64 v[186:187], v[74:75], v[186:187]
	v_add_f64 v[184:185], v[74:75], v[194:195]
	v_fma_f64 v[194:195], v[117:118], s[10:11], -v[204:205]
	v_fma_f64 v[115:116], v[115:116], s[26:27], v[131:132]
	v_add_f64 v[74:75], v[74:75], v[113:114]
	v_fma_f64 v[113:114], v[117:118], s[26:27], -v[129:130]
	v_mul_f64 v[80:81], v[111:112], s[36:37]
	v_fma_f64 v[117:118], v[141:142], s[0:1], -v[121:122]
	v_mul_f64 v[111:112], v[111:112], s[20:21]
	v_add_f64 v[18:19], v[22:23], v[18:19]
	v_add_f64 v[16:17], v[20:21], v[16:17]
	v_mul_f64 v[84:85], v[147:148], s[36:37]
	v_mul_f64 v[147:148], v[147:148], s[20:21]
	v_add_f64 v[20:21], v[220:221], v[76:77]
	v_fma_f64 v[131:132], v[143:144], s[0:1], v[119:120]
	v_add_f64 v[22:23], v[216:217], v[78:79]
	v_fma_f64 v[78:79], v[141:142], s[0:1], v[121:122]
	v_fma_f64 v[119:120], v[143:144], s[0:1], -v[119:120]
	v_fma_f64 v[121:122], v[141:142], s[2:3], v[123:124]
	v_mul_f64 v[76:77], v[109:110], s[16:17]
	v_add_f64 v[129:130], v[164:165], v[202:203]
	v_fma_f64 v[164:165], v[141:142], s[2:3], -v[123:124]
	v_add_f64 v[186:187], v[218:219], v[186:187]
	v_fma_f64 v[202:203], v[143:144], s[2:3], v[127:128]
	v_add_f64 v[82:83], v[82:83], v[184:185]
	v_add_f64 v[86:87], v[194:195], v[86:87]
	;; [unrolled: 1-line block ×3, first 2 shown]
	v_fma_f64 v[115:116], v[143:144], s[2:3], -v[127:128]
	v_add_f64 v[72:73], v[113:114], v[72:73]
	v_fma_f64 v[123:124], v[107:108], s[24:25], -v[80:81]
	v_mul_f64 v[109:110], v[109:110], s[18:19]
	v_fma_f64 v[141:142], v[107:108], s[10:11], -v[111:112]
	v_add_f64 v[14:15], v[18:19], v[14:15]
	v_add_f64 v[12:13], v[16:17], v[12:13]
	v_mul_f64 v[113:114], v[145:146], s[16:17]
	v_fma_f64 v[127:128], v[139:140], s[24:25], v[84:85]
	v_mul_f64 v[182:183], v[135:136], s[18:19]
	v_add_f64 v[18:19], v[131:132], v[22:23]
	v_fma_f64 v[22:23], v[107:108], s[24:25], v[80:81]
	v_fma_f64 v[80:81], v[139:140], s[24:25], -v[84:85]
	v_fma_f64 v[84:85], v[107:108], s[10:11], v[111:112]
	v_fma_f64 v[111:112], v[103:104], s[2:3], -v[76:77]
	v_add_f64 v[117:118], v[117:118], v[129:130]
	v_mul_f64 v[129:130], v[145:146], s[18:19]
	v_add_f64 v[143:144], v[164:165], v[186:187]
	v_fma_f64 v[145:146], v[139:140], s[10:11], v[147:148]
	v_add_f64 v[16:17], v[202:203], v[20:21]
	v_add_f64 v[20:21], v[200:201], v[133:134]
	;; [unrolled: 1-line block ×5, first 2 shown]
	v_fma_f64 v[86:87], v[139:140], s[10:11], -v[147:148]
	v_add_f64 v[72:73], v[115:116], v[72:73]
	v_fma_f64 v[121:122], v[103:104], s[24:25], -v[109:110]
	v_add_f64 v[10:11], v[14:15], v[10:11]
	v_add_f64 v[8:9], v[12:13], v[8:9]
	v_mul_f64 v[119:120], v[135:136], s[8:9]
	v_fma_f64 v[107:108], v[137:138], s[26:27], v[190:191]
	v_mul_f64 v[192:193], v[135:136], s[20:21]
	v_add_f64 v[14:15], v[127:128], v[18:19]
	v_fma_f64 v[18:19], v[103:104], s[2:3], v[76:77]
	v_add_f64 v[98:99], v[98:99], v[168:169]
	v_fma_f64 v[208:209], v[101:102], s[10:11], v[188:189]
	v_fma_f64 v[188:189], v[101:102], s[10:11], -v[188:189]
	v_add_f64 v[115:116], v[123:124], v[117:118]
	v_fma_f64 v[131:132], v[137:138], s[24:25], v[129:130]
	v_add_f64 v[123:124], v[141:142], v[143:144]
	v_fma_f64 v[117:118], v[137:138], s[2:3], v[113:114]
	v_add_f64 v[12:13], v[145:146], v[16:17]
	v_add_f64 v[16:17], v[196:197], v[20:21]
	;; [unrolled: 1-line block ×3, first 2 shown]
	v_fma_f64 v[22:23], v[137:138], s[2:3], -v[113:114]
	v_add_f64 v[76:77], v[80:81], v[82:83]
	v_fma_f64 v[78:79], v[103:104], s[24:25], v[109:110]
	v_add_f64 v[74:75], v[84:85], v[74:75]
	v_fma_f64 v[80:81], v[137:138], s[24:25], -v[129:130]
	v_add_f64 v[72:73], v[86:87], v[72:73]
	v_add_f64 v[84:85], v[180:181], v[90:91]
	v_fma_f64 v[90:91], v[101:102], s[22:23], -v[212:213]
	v_fma_f64 v[109:110], v[125:126], s[22:23], v[214:215]
	v_fma_f64 v[82:83], v[101:102], s[24:25], -v[176:177]
	v_fma_f64 v[86:87], v[125:126], s[24:25], v[182:183]
	;; [unrolled: 2-line block ×3, first 2 shown]
	v_fma_f64 v[168:169], v[101:102], s[24:25], v[176:177]
	v_fma_f64 v[178:179], v[125:126], s[24:25], -v[182:183]
	v_add_f64 v[103:104], v[111:112], v[115:116]
	v_fma_f64 v[111:112], v[101:102], s[0:1], -v[105:106]
	v_add_f64 v[113:114], v[121:122], v[123:124]
	v_add_f64 v[121:122], v[10:11], v[6:7]
	;; [unrolled: 1-line block ×3, first 2 shown]
	v_fma_f64 v[115:116], v[125:126], s[0:1], v[119:120]
	v_add_f64 v[12:13], v[131:132], v[12:13]
	v_add_f64 v[117:118], v[117:118], v[14:15]
	;; [unrolled: 1-line block ×3, first 2 shown]
	v_fma_f64 v[107:108], v[101:102], s[22:23], v[212:213]
	v_add_f64 v[127:128], v[18:19], v[20:21]
	v_fma_f64 v[129:130], v[125:126], s[22:23], -v[214:215]
	v_add_f64 v[131:132], v[22:23], v[76:77]
	v_fma_f64 v[101:102], v[101:102], s[0:1], v[105:106]
	v_add_f64 v[105:106], v[78:79], v[74:75]
	v_fma_f64 v[119:120], v[125:126], s[0:1], -v[119:120]
	v_add_f64 v[125:126], v[80:81], v[72:73]
	v_add_f64 v[22:23], v[82:83], v[84:85]
	;; [unrolled: 1-line block ×23, first 2 shown]
	v_mov_b32_e32 v92, 4
	v_lshlrev_b32_sdwa v92, v92, v247 dst_sel:DWORD dst_unused:UNUSED_PAD src0_sel:DWORD src1_sel:WORD_0
	ds_write_b128 v92, v[0:3]
	ds_write_b128 v92, v[76:79] offset:16
	ds_write_b128 v92, v[72:75] offset:32
	;; [unrolled: 1-line block ×12, first 2 shown]
.LBB0_13:
	s_or_b32 exec_lo, exec_lo, s33
	s_waitcnt lgkmcnt(0)
	s_barrier
	buffer_gl0_inv
	ds_read_b128 v[0:3], v245 offset:1456
	ds_read_b128 v[4:7], v245 offset:2912
	;; [unrolled: 1-line block ×6, first 2 shown]
	s_mov_b32 s2, 0x37e14327
	s_mov_b32 s16, 0xe976ee23
	;; [unrolled: 1-line block ×14, first 2 shown]
	s_waitcnt lgkmcnt(5)
	v_mul_f64 v[72:73], v[30:31], v[2:3]
	v_mul_f64 v[30:31], v[30:31], v[0:1]
	s_waitcnt lgkmcnt(4)
	v_mul_f64 v[74:75], v[26:27], v[6:7]
	v_mul_f64 v[26:27], v[26:27], v[4:5]
	;; [unrolled: 3-line block ×6, first 2 shown]
	s_mov_b32 s21, 0xbfe77f67
	s_mov_b32 s25, 0x3fd5d0dc
	;; [unrolled: 1-line block ×6, first 2 shown]
	v_fma_f64 v[0:1], v[28:29], v[0:1], v[72:73]
	v_fma_f64 v[2:3], v[28:29], v[2:3], -v[30:31]
	v_fma_f64 v[4:5], v[24:25], v[4:5], v[74:75]
	v_fma_f64 v[6:7], v[24:25], v[6:7], -v[26:27]
	;; [unrolled: 2-line block ×6, first 2 shown]
	v_add_f64 v[24:25], v[0:1], v[8:9]
	v_add_f64 v[26:27], v[2:3], v[10:11]
	;; [unrolled: 1-line block ×4, first 2 shown]
	v_add_f64 v[4:5], v[4:5], -v[12:13]
	v_add_f64 v[6:7], v[6:7], -v[14:15]
	v_add_f64 v[12:13], v[16:17], v[20:21]
	v_add_f64 v[14:15], v[18:19], v[22:23]
	v_add_f64 v[16:17], v[20:21], -v[16:17]
	v_add_f64 v[18:19], v[22:23], -v[18:19]
	;; [unrolled: 1-line block ×4, first 2 shown]
	ds_read_b128 v[0:3], v245
	s_waitcnt lgkmcnt(0)
	s_barrier
	buffer_gl0_inv
	v_add_f64 v[20:21], v[28:29], v[24:25]
	v_add_f64 v[22:23], v[30:31], v[26:27]
	v_add_f64 v[32:33], v[24:25], -v[12:13]
	v_add_f64 v[34:35], v[26:27], -v[14:15]
	;; [unrolled: 1-line block ×6, first 2 shown]
	v_add_f64 v[4:5], v[16:17], v[4:5]
	v_add_f64 v[6:7], v[18:19], v[6:7]
	v_add_f64 v[16:17], v[8:9], -v[16:17]
	v_add_f64 v[18:19], v[10:11], -v[18:19]
	;; [unrolled: 1-line block ×4, first 2 shown]
	v_add_f64 v[20:21], v[12:13], v[20:21]
	v_add_f64 v[22:23], v[14:15], v[22:23]
	v_add_f64 v[12:13], v[12:13], -v[28:29]
	v_add_f64 v[14:15], v[14:15], -v[30:31]
	v_mul_f64 v[32:33], v[32:33], s[2:3]
	v_mul_f64 v[34:35], v[34:35], s[2:3]
	;; [unrolled: 1-line block ×6, first 2 shown]
	v_add_f64 v[4:5], v[4:5], v[8:9]
	v_add_f64 v[6:7], v[6:7], v[10:11]
	;; [unrolled: 1-line block ×4, first 2 shown]
	v_mul_f64 v[28:29], v[12:13], s[0:1]
	v_mul_f64 v[30:31], v[14:15], s[0:1]
	v_fma_f64 v[8:9], v[12:13], s[0:1], v[32:33]
	v_fma_f64 v[10:11], v[14:15], s[0:1], v[34:35]
	;; [unrolled: 1-line block ×4, first 2 shown]
	v_fma_f64 v[16:17], v[16:17], s[24:25], -v[44:45]
	v_fma_f64 v[18:19], v[18:19], s[24:25], -v[46:47]
	;; [unrolled: 1-line block ×6, first 2 shown]
	v_fma_f64 v[20:21], v[20:21], s[10:11], v[0:1]
	v_fma_f64 v[22:23], v[22:23], s[10:11], v[2:3]
	v_fma_f64 v[24:25], v[24:25], s[18:19], -v[28:29]
	v_fma_f64 v[26:27], v[26:27], s[18:19], -v[30:31]
	v_fma_f64 v[28:29], v[4:5], s[26:27], v[12:13]
	v_fma_f64 v[30:31], v[6:7], s[26:27], v[14:15]
	;; [unrolled: 1-line block ×6, first 2 shown]
	v_add_f64 v[44:45], v[8:9], v[20:21]
	v_add_f64 v[46:47], v[10:11], v[22:23]
	;; [unrolled: 1-line block ×7, first 2 shown]
	v_add_f64 v[6:7], v[46:47], -v[28:29]
	v_add_f64 v[8:9], v[42:43], v[32:33]
	v_add_f64 v[10:11], v[34:35], -v[40:41]
	v_add_f64 v[12:13], v[16:17], -v[38:39]
	v_add_f64 v[14:15], v[36:37], v[18:19]
	v_add_f64 v[16:17], v[38:39], v[16:17]
	v_add_f64 v[18:19], v[18:19], -v[36:37]
	v_add_f64 v[20:21], v[32:33], -v[42:43]
	v_add_f64 v[22:23], v[40:41], v[34:35]
	v_add_f64 v[24:25], v[44:45], -v[30:31]
	v_add_f64 v[26:27], v[28:29], v[46:47]
	ds_write_b128 v149, v[0:3]
	ds_write_b128 v149, v[4:7] offset:208
	ds_write_b128 v149, v[8:11] offset:416
	ds_write_b128 v149, v[12:15] offset:624
	ds_write_b128 v149, v[16:19] offset:832
	ds_write_b128 v149, v[20:23] offset:1040
	ds_write_b128 v149, v[24:27] offset:1248
	s_waitcnt lgkmcnt(0)
	s_barrier
	buffer_gl0_inv
	ds_read_b128 v[0:3], v245 offset:1456
	ds_read_b128 v[4:7], v245 offset:2912
	;; [unrolled: 1-line block ×6, first 2 shown]
	s_waitcnt lgkmcnt(5)
	v_mul_f64 v[24:25], v[54:55], v[2:3]
	v_mul_f64 v[26:27], v[54:55], v[0:1]
	s_waitcnt lgkmcnt(4)
	v_mul_f64 v[28:29], v[50:51], v[6:7]
	v_mul_f64 v[30:31], v[50:51], v[4:5]
	;; [unrolled: 3-line block ×6, first 2 shown]
	v_fma_f64 v[0:1], v[52:53], v[0:1], v[24:25]
	v_fma_f64 v[2:3], v[52:53], v[2:3], -v[26:27]
	v_fma_f64 v[4:5], v[48:49], v[4:5], v[28:29]
	v_fma_f64 v[6:7], v[48:49], v[6:7], -v[30:31]
	;; [unrolled: 2-line block ×6, first 2 shown]
	v_add_f64 v[24:25], v[0:1], v[8:9]
	v_add_f64 v[26:27], v[2:3], v[10:11]
	;; [unrolled: 1-line block ×4, first 2 shown]
	v_add_f64 v[4:5], v[4:5], -v[12:13]
	v_add_f64 v[6:7], v[6:7], -v[14:15]
	v_add_f64 v[12:13], v[16:17], v[20:21]
	v_add_f64 v[14:15], v[18:19], v[22:23]
	v_add_f64 v[16:17], v[20:21], -v[16:17]
	v_add_f64 v[18:19], v[22:23], -v[18:19]
	v_add_f64 v[8:9], v[0:1], -v[8:9]
	v_add_f64 v[10:11], v[2:3], -v[10:11]
	v_add_f64 v[0:1], v[28:29], v[24:25]
	v_add_f64 v[2:3], v[30:31], v[26:27]
	v_add_f64 v[20:21], v[24:25], -v[12:13]
	v_add_f64 v[22:23], v[26:27], -v[14:15]
	;; [unrolled: 1-line block ×6, first 2 shown]
	v_add_f64 v[4:5], v[16:17], v[4:5]
	v_add_f64 v[6:7], v[18:19], v[6:7]
	v_add_f64 v[16:17], v[8:9], -v[16:17]
	v_add_f64 v[18:19], v[10:11], -v[18:19]
	;; [unrolled: 1-line block ×4, first 2 shown]
	v_add_f64 v[40:41], v[12:13], v[0:1]
	v_add_f64 v[42:43], v[14:15], v[2:3]
	ds_read_b128 v[0:3], v245
	v_add_f64 v[12:13], v[12:13], -v[28:29]
	v_add_f64 v[14:15], v[14:15], -v[30:31]
	v_mul_f64 v[20:21], v[20:21], s[2:3]
	v_mul_f64 v[22:23], v[22:23], s[2:3]
	;; [unrolled: 1-line block ×6, first 2 shown]
	v_add_f64 v[4:5], v[4:5], v[8:9]
	v_add_f64 v[6:7], v[6:7], v[10:11]
	s_waitcnt lgkmcnt(0)
	v_add_f64 v[0:1], v[0:1], v[40:41]
	v_add_f64 v[2:3], v[2:3], v[42:43]
	v_mul_f64 v[28:29], v[12:13], s[0:1]
	v_mul_f64 v[30:31], v[14:15], s[0:1]
	v_fma_f64 v[8:9], v[12:13], s[0:1], v[20:21]
	v_fma_f64 v[10:11], v[14:15], s[0:1], v[22:23]
	;; [unrolled: 1-line block ×4, first 2 shown]
	v_fma_f64 v[32:33], v[36:37], s[8:9], -v[32:33]
	v_fma_f64 v[34:35], v[38:39], s[8:9], -v[34:35]
	;; [unrolled: 1-line block ×6, first 2 shown]
	v_fma_f64 v[36:37], v[40:41], s[10:11], v[0:1]
	v_fma_f64 v[38:39], v[42:43], s[10:11], v[2:3]
	v_fma_f64 v[24:25], v[24:25], s[18:19], -v[28:29]
	v_fma_f64 v[26:27], v[26:27], s[18:19], -v[30:31]
	v_fma_f64 v[28:29], v[4:5], s[26:27], v[12:13]
	v_fma_f64 v[30:31], v[6:7], s[26:27], v[14:15]
	;; [unrolled: 1-line block ×6, first 2 shown]
	v_add_f64 v[44:45], v[8:9], v[36:37]
	v_add_f64 v[46:47], v[10:11], v[38:39]
	;; [unrolled: 1-line block ×7, first 2 shown]
	v_add_f64 v[6:7], v[46:47], -v[28:29]
	v_add_f64 v[8:9], v[42:43], v[20:21]
	v_add_f64 v[10:11], v[22:23], -v[40:41]
	v_add_f64 v[12:13], v[16:17], -v[34:35]
	v_add_f64 v[14:15], v[32:33], v[18:19]
	v_add_f64 v[16:17], v[34:35], v[16:17]
	v_add_f64 v[18:19], v[18:19], -v[32:33]
	v_add_f64 v[20:21], v[20:21], -v[42:43]
	v_add_f64 v[22:23], v[40:41], v[22:23]
	v_add_f64 v[24:25], v[44:45], -v[30:31]
	v_add_f64 v[26:27], v[28:29], v[46:47]
	ds_write_b128 v245, v[0:3]
	ds_write_b128 v245, v[4:7] offset:1456
	ds_write_b128 v245, v[8:11] offset:2912
	;; [unrolled: 1-line block ×6, first 2 shown]
	s_waitcnt lgkmcnt(0)
	s_barrier
	buffer_gl0_inv
	s_and_b32 exec_lo, exec_lo, vcc_lo
	s_cbranch_execz .LBB0_15
; %bb.14:
	v_add_co_u32 v36, s0, s14, v245
	v_add_co_ci_u32_e64 v37, null, s15, 0, s0
	v_mad_u64_u32 v[48:49], null, s6, v100, 0
	v_add_co_u32 v20, vcc_lo, 0x800, v36
	v_add_co_ci_u32_e32 v21, vcc_lo, 0, v37, vcc_lo
	v_add_co_u32 v28, vcc_lo, 0x1000, v36
	v_add_co_ci_u32_e32 v29, vcc_lo, 0, v37, vcc_lo
	v_add_co_u32 v40, vcc_lo, 0x1800, v36
	s_clause 0x4
	global_load_dwordx4 v[0:3], v245, s[14:15]
	global_load_dwordx4 v[4:7], v245, s[14:15] offset:784
	global_load_dwordx4 v[8:11], v245, s[14:15] offset:1568
	global_load_dwordx4 v[12:15], v[20:21], off offset:304
	global_load_dwordx4 v[16:19], v[20:21], off offset:1088
	v_add_co_ci_u32_e32 v41, vcc_lo, 0, v37, vcc_lo
	v_add_co_u32 v101, vcc_lo, 0x2000, v36
	s_clause 0x3
	global_load_dwordx4 v[20:23], v[20:21], off offset:1872
	global_load_dwordx4 v[24:27], v[28:29], off offset:608
	global_load_dwordx4 v[28:31], v[28:29], off offset:1392
	global_load_dwordx4 v[32:35], v[40:41], off offset:128
	v_add_co_ci_u32_e32 v102, vcc_lo, 0, v37, vcc_lo
	s_clause 0x2
	global_load_dwordx4 v[36:39], v[40:41], off offset:912
	global_load_dwordx4 v[40:43], v[40:41], off offset:1696
	;; [unrolled: 1-line block ×3, first 2 shown]
	v_mad_u64_u32 v[50:51], null, s4, v246, 0
	s_mul_i32 s0, s5, 0x310
	s_mul_hi_u32 s1, s4, 0x310
	s_mul_i32 s2, s4, 0x310
	s_add_i32 s3, s1, s0
	s_mov_b32 s0, 0xf5262dd1
	s_mov_b32 s1, 0x3f59b876
	v_mad_u64_u32 v[52:53], null, s7, v100, v[49:50]
	v_mad_u64_u32 v[53:54], null, s5, v246, v[51:52]
	v_mov_b32_e32 v49, v52
	v_lshlrev_b64 v[48:49], 4, v[48:49]
	v_mov_b32_e32 v51, v53
	v_lshlrev_b64 v[50:51], 4, v[50:51]
	v_add_co_u32 v48, vcc_lo, s12, v48
	v_add_co_ci_u32_e32 v49, vcc_lo, s13, v49, vcc_lo
	v_add_co_u32 v103, vcc_lo, v48, v50
	v_add_co_ci_u32_e32 v104, vcc_lo, v49, v51, vcc_lo
	ds_read_b128 v[48:51], v245
	ds_read_b128 v[52:55], v245 offset:784
	ds_read_b128 v[56:59], v245 offset:1568
	;; [unrolled: 1-line block ×11, first 2 shown]
	v_add_co_u32 v105, vcc_lo, v103, s2
	v_add_co_ci_u32_e32 v106, vcc_lo, s3, v104, vcc_lo
	ds_read_b128 v[96:99], v245 offset:9408
	v_add_co_u32 v107, vcc_lo, v105, s2
	v_add_co_ci_u32_e32 v108, vcc_lo, s3, v106, vcc_lo
	v_add_co_u32 v109, vcc_lo, v107, s2
	v_add_co_ci_u32_e32 v110, vcc_lo, s3, v108, vcc_lo
	;; [unrolled: 2-line block ×8, first 2 shown]
	s_waitcnt vmcnt(11) lgkmcnt(12)
	v_mul_f64 v[123:124], v[50:51], v[2:3]
	v_mul_f64 v[2:3], v[48:49], v[2:3]
	s_waitcnt vmcnt(10) lgkmcnt(11)
	v_mul_f64 v[125:126], v[54:55], v[6:7]
	v_mul_f64 v[6:7], v[52:53], v[6:7]
	;; [unrolled: 3-line block ×12, first 2 shown]
	v_fma_f64 v[48:49], v[48:49], v[0:1], v[123:124]
	v_fma_f64 v[2:3], v[0:1], v[50:51], -v[2:3]
	v_fma_f64 v[50:51], v[52:53], v[4:5], v[125:126]
	v_fma_f64 v[6:7], v[4:5], v[54:55], -v[6:7]
	;; [unrolled: 2-line block ×12, first 2 shown]
	v_mul_f64 v[0:1], v[48:49], s[0:1]
	v_mul_f64 v[2:3], v[2:3], s[0:1]
	;; [unrolled: 1-line block ×24, first 2 shown]
	v_add_co_u32 v48, vcc_lo, v121, s2
	v_add_co_ci_u32_e32 v49, vcc_lo, s3, v122, vcc_lo
	v_add_co_u32 v50, vcc_lo, v48, s2
	v_add_co_ci_u32_e32 v51, vcc_lo, s3, v49, vcc_lo
	global_store_dwordx4 v[103:104], v[0:3], off
	global_store_dwordx4 v[105:106], v[4:7], off
	;; [unrolled: 1-line block ×12, first 2 shown]
	global_load_dwordx4 v[0:3], v[101:102], off offset:1216
	s_waitcnt vmcnt(0) lgkmcnt(0)
	v_mul_f64 v[4:5], v[98:99], v[2:3]
	v_mul_f64 v[2:3], v[96:97], v[2:3]
	v_fma_f64 v[4:5], v[96:97], v[0:1], v[4:5]
	v_fma_f64 v[2:3], v[0:1], v[98:99], -v[2:3]
	v_mul_f64 v[0:1], v[4:5], s[0:1]
	v_mul_f64 v[2:3], v[2:3], s[0:1]
	v_add_co_u32 v4, vcc_lo, v50, s2
	v_add_co_ci_u32_e32 v5, vcc_lo, s3, v51, vcc_lo
	global_store_dwordx4 v[4:5], v[0:3], off
.LBB0_15:
	s_endpgm
	.section	.rodata,"a",@progbits
	.p2align	6, 0x0
	.amdhsa_kernel bluestein_single_fwd_len637_dim1_dp_op_CI_CI
		.amdhsa_group_segment_fixed_size 10192
		.amdhsa_private_segment_fixed_size 0
		.amdhsa_kernarg_size 104
		.amdhsa_user_sgpr_count 6
		.amdhsa_user_sgpr_private_segment_buffer 1
		.amdhsa_user_sgpr_dispatch_ptr 0
		.amdhsa_user_sgpr_queue_ptr 0
		.amdhsa_user_sgpr_kernarg_segment_ptr 1
		.amdhsa_user_sgpr_dispatch_id 0
		.amdhsa_user_sgpr_flat_scratch_init 0
		.amdhsa_user_sgpr_private_segment_size 0
		.amdhsa_wavefront_size32 1
		.amdhsa_uses_dynamic_stack 0
		.amdhsa_system_sgpr_private_segment_wavefront_offset 0
		.amdhsa_system_sgpr_workgroup_id_x 1
		.amdhsa_system_sgpr_workgroup_id_y 0
		.amdhsa_system_sgpr_workgroup_id_z 0
		.amdhsa_system_sgpr_workgroup_info 0
		.amdhsa_system_vgpr_workitem_id 0
		.amdhsa_next_free_vgpr 255
		.amdhsa_next_free_sgpr 44
		.amdhsa_reserve_vcc 1
		.amdhsa_reserve_flat_scratch 0
		.amdhsa_float_round_mode_32 0
		.amdhsa_float_round_mode_16_64 0
		.amdhsa_float_denorm_mode_32 3
		.amdhsa_float_denorm_mode_16_64 3
		.amdhsa_dx10_clamp 1
		.amdhsa_ieee_mode 1
		.amdhsa_fp16_overflow 0
		.amdhsa_workgroup_processor_mode 1
		.amdhsa_memory_ordered 1
		.amdhsa_forward_progress 0
		.amdhsa_shared_vgpr_count 0
		.amdhsa_exception_fp_ieee_invalid_op 0
		.amdhsa_exception_fp_denorm_src 0
		.amdhsa_exception_fp_ieee_div_zero 0
		.amdhsa_exception_fp_ieee_overflow 0
		.amdhsa_exception_fp_ieee_underflow 0
		.amdhsa_exception_fp_ieee_inexact 0
		.amdhsa_exception_int_div_zero 0
	.end_amdhsa_kernel
	.text
.Lfunc_end0:
	.size	bluestein_single_fwd_len637_dim1_dp_op_CI_CI, .Lfunc_end0-bluestein_single_fwd_len637_dim1_dp_op_CI_CI
                                        ; -- End function
	.section	.AMDGPU.csdata,"",@progbits
; Kernel info:
; codeLenInByte = 16364
; NumSgprs: 46
; NumVgprs: 255
; ScratchSize: 0
; MemoryBound: 0
; FloatMode: 240
; IeeeMode: 1
; LDSByteSize: 10192 bytes/workgroup (compile time only)
; SGPRBlocks: 5
; VGPRBlocks: 31
; NumSGPRsForWavesPerEU: 46
; NumVGPRsForWavesPerEU: 255
; Occupancy: 4
; WaveLimiterHint : 1
; COMPUTE_PGM_RSRC2:SCRATCH_EN: 0
; COMPUTE_PGM_RSRC2:USER_SGPR: 6
; COMPUTE_PGM_RSRC2:TRAP_HANDLER: 0
; COMPUTE_PGM_RSRC2:TGID_X_EN: 1
; COMPUTE_PGM_RSRC2:TGID_Y_EN: 0
; COMPUTE_PGM_RSRC2:TGID_Z_EN: 0
; COMPUTE_PGM_RSRC2:TIDIG_COMP_CNT: 0
	.text
	.p2alignl 6, 3214868480
	.fill 48, 4, 3214868480
	.type	__hip_cuid_c2b094a198df0bb9,@object ; @__hip_cuid_c2b094a198df0bb9
	.section	.bss,"aw",@nobits
	.globl	__hip_cuid_c2b094a198df0bb9
__hip_cuid_c2b094a198df0bb9:
	.byte	0                               ; 0x0
	.size	__hip_cuid_c2b094a198df0bb9, 1

	.ident	"AMD clang version 19.0.0git (https://github.com/RadeonOpenCompute/llvm-project roc-6.4.0 25133 c7fe45cf4b819c5991fe208aaa96edf142730f1d)"
	.section	".note.GNU-stack","",@progbits
	.addrsig
	.addrsig_sym __hip_cuid_c2b094a198df0bb9
	.amdgpu_metadata
---
amdhsa.kernels:
  - .args:
      - .actual_access:  read_only
        .address_space:  global
        .offset:         0
        .size:           8
        .value_kind:     global_buffer
      - .actual_access:  read_only
        .address_space:  global
        .offset:         8
        .size:           8
        .value_kind:     global_buffer
      - .actual_access:  read_only
        .address_space:  global
        .offset:         16
        .size:           8
        .value_kind:     global_buffer
      - .actual_access:  read_only
        .address_space:  global
        .offset:         24
        .size:           8
        .value_kind:     global_buffer
      - .actual_access:  read_only
        .address_space:  global
        .offset:         32
        .size:           8
        .value_kind:     global_buffer
      - .offset:         40
        .size:           8
        .value_kind:     by_value
      - .address_space:  global
        .offset:         48
        .size:           8
        .value_kind:     global_buffer
      - .address_space:  global
        .offset:         56
        .size:           8
        .value_kind:     global_buffer
      - .address_space:  global
        .offset:         64
        .size:           8
        .value_kind:     global_buffer
      - .address_space:  global
        .offset:         72
        .size:           8
        .value_kind:     global_buffer
      - .offset:         80
        .size:           4
        .value_kind:     by_value
      - .address_space:  global
        .offset:         88
        .size:           8
        .value_kind:     global_buffer
      - .address_space:  global
        .offset:         96
        .size:           8
        .value_kind:     global_buffer
    .group_segment_fixed_size: 10192
    .kernarg_segment_align: 8
    .kernarg_segment_size: 104
    .language:       OpenCL C
    .language_version:
      - 2
      - 0
    .max_flat_workgroup_size: 91
    .name:           bluestein_single_fwd_len637_dim1_dp_op_CI_CI
    .private_segment_fixed_size: 0
    .sgpr_count:     46
    .sgpr_spill_count: 0
    .symbol:         bluestein_single_fwd_len637_dim1_dp_op_CI_CI.kd
    .uniform_work_group_size: 1
    .uses_dynamic_stack: false
    .vgpr_count:     255
    .vgpr_spill_count: 0
    .wavefront_size: 32
    .workgroup_processor_mode: 1
amdhsa.target:   amdgcn-amd-amdhsa--gfx1030
amdhsa.version:
  - 1
  - 2
...

	.end_amdgpu_metadata
